;; amdgpu-corpus repo=ROCm/rocFFT kind=compiled arch=gfx1201 opt=O3
	.text
	.amdgcn_target "amdgcn-amd-amdhsa--gfx1201"
	.amdhsa_code_object_version 6
	.protected	fft_rtc_back_len169_factors_13_13_wgs_156_tpt_13_dp_op_CI_CI_sbrc_z_xy_unaligned ; -- Begin function fft_rtc_back_len169_factors_13_13_wgs_156_tpt_13_dp_op_CI_CI_sbrc_z_xy_unaligned
	.globl	fft_rtc_back_len169_factors_13_13_wgs_156_tpt_13_dp_op_CI_CI_sbrc_z_xy_unaligned
	.p2align	8
	.type	fft_rtc_back_len169_factors_13_13_wgs_156_tpt_13_dp_op_CI_CI_sbrc_z_xy_unaligned,@function
fft_rtc_back_len169_factors_13_13_wgs_156_tpt_13_dp_op_CI_CI_sbrc_z_xy_unaligned: ; @fft_rtc_back_len169_factors_13_13_wgs_156_tpt_13_dp_op_CI_CI_sbrc_z_xy_unaligned
; %bb.0:
	s_load_b256 s[4:11], s[0:1], 0x0
	v_lshl_add_u32 v3, v0, 4, 0
	s_wait_kmcnt 0x0
	s_load_b128 s[12:15], s[8:9], 0x8
	s_load_b32 s26, s[10:11], 0x10
	s_wait_kmcnt 0x0
	s_add_co_i32 s2, s12, -1
	s_delay_alu instid0(SALU_CYCLE_1) | instskip(NEXT) | instid1(SALU_CYCLE_1)
	s_mul_hi_u32 s2, s2, 0xaaaaaaab
	s_lshr_b32 s3, s2, 3
	s_delay_alu instid0(SALU_CYCLE_1) | instskip(NEXT) | instid1(SALU_CYCLE_1)
	s_add_co_i32 s8, s3, 1
	s_mul_i32 s9, s8, s14
	s_cvt_f32_u32 s13, s8
	s_cvt_f32_u32 s2, s9
	s_sub_co_i32 s14, 0, s9
	s_delay_alu instid0(SALU_CYCLE_2) | instskip(NEXT) | instid1(TRANS32_DEP_1)
	v_rcp_iflag_f32_e32 v1, s2
	v_readfirstlane_b32 s2, v1
	v_rcp_iflag_f32_e32 v1, s13
	s_delay_alu instid0(VALU_DEP_1) | instskip(SKIP_1) | instid1(SALU_CYCLE_2)
	s_mul_f32 s2, s2, 0x4f7ffffe
	s_wait_alu 0xfffe
	s_cvt_u32_f32 s2, s2
	s_wait_alu 0xfffe
	s_delay_alu instid0(SALU_CYCLE_2) | instskip(NEXT) | instid1(SALU_CYCLE_1)
	s_mul_i32 s14, s14, s2
	s_mul_hi_u32 s13, s2, s14
	s_delay_alu instid0(TRANS32_DEP_1)
	v_readfirstlane_b32 s14, v1
	s_wait_alu 0xfffe
	s_add_co_i32 s2, s2, s13
	s_wait_alu 0xfffe
	s_mul_hi_u32 s2, ttmp9, s2
	s_mul_f32 s14, s14, 0x4f7ffffe
	s_wait_alu 0xfffe
	s_mul_i32 s13, s2, s9
	s_add_co_i32 s15, s2, 1
	s_wait_alu 0xfffe
	s_sub_co_i32 s13, ttmp9, s13
	s_wait_alu 0xfffe
	s_sub_co_i32 s16, s13, s9
	s_cmp_ge_u32 s13, s9
	s_cselect_b32 s2, s15, s2
	s_cselect_b32 s13, s16, s13
	s_wait_alu 0xfffe
	s_add_co_i32 s15, s2, 1
	s_cmp_ge_u32 s13, s9
	s_cvt_u32_f32 s13, s14
	s_cselect_b32 s2, s15, s2
	s_not_b32 s3, s3
	s_wait_alu 0xfffe
	s_mul_i32 s9, s2, s9
	s_mul_i32 s3, s3, s13
	s_sub_co_i32 s9, ttmp9, s9
	s_wait_alu 0xfffe
	s_mul_hi_u32 s3, s13, s3
	s_load_b64 s[14:15], s[0:1], 0x20
	s_add_co_i32 s13, s13, s3
	s_wait_alu 0xfffe
	s_mul_hi_u32 s3, s9, s13
	s_mul_hi_u32 s13, ttmp9, s13
	s_wait_alu 0xfffe
	s_mul_i32 s16, s3, s8
	s_delay_alu instid0(SALU_CYCLE_1)
	s_sub_co_i32 s9, s9, s16
	s_add_co_i32 s16, s3, 1
	s_sub_co_i32 s17, s9, s8
	s_cmp_ge_u32 s9, s8
	s_cselect_b32 s3, s16, s3
	s_cselect_b32 s9, s17, s9
	s_wait_alu 0xfffe
	s_add_co_i32 s16, s3, 1
	s_cmp_ge_u32 s9, s8
	s_mul_i32 s9, s13, s8
	s_cselect_b32 s13, s16, s3
	s_load_b128 s[16:19], s[10:11], 0x0
	s_sub_co_i32 s3, ttmp9, s9
	s_wait_alu 0xfffe
	s_sub_co_i32 s9, s3, s8
	s_cmp_ge_u32 s3, s8
	s_cselect_b32 s3, s9, s3
	s_wait_alu 0xfffe
	s_sub_co_i32 s9, s3, s8
	s_cmp_ge_u32 s3, s8
	s_wait_kmcnt 0x0
	s_cselect_b32 s19, s9, s3
	s_lshl_b64 s[6:7], s[6:7], 3
	s_mov_b32 s3, 0
	s_add_nc_u64 s[8:9], s[10:11], s[6:7]
	s_load_b64 s[24:25], s[8:9], 0x0
	s_load_b64 s[22:23], s[0:1], 0x58
	s_add_nc_u64 s[20:21], s[14:15], s[6:7]
	s_clause 0x2
	s_load_b128 s[8:11], s[14:15], 0x0
	s_load_b64 s[6:7], s[14:15], 0x10
	s_load_b64 s[20:21], s[20:21], 0x0
	s_mul_i32 s14, s19, 12
	s_wait_kmcnt 0x0
	s_mul_i32 s7, s13, s26
	s_mul_i32 s15, s14, s18
	s_add_co_i32 s19, s14, 12
	s_add_co_i32 s26, s15, s7
	s_cmp_le_u32 s19, s12
	s_mov_b32 s27, s3
	s_cselect_b32 s7, -1, 0
	s_mov_b32 s11, -1
	s_and_b32 vcc_lo, exec_lo, s7
	s_mul_u64 s[24:25], s[24:25], s[2:3]
	s_delay_alu instid0(SALU_CYCLE_1)
	s_add_nc_u64 s[24:25], s[24:25], s[26:27]
	s_cbranch_vccnz .LBB0_4
; %bb.1:
	v_dual_mov_b32 v2, 0 :: v_dual_mov_b32 v5, v3
	v_mov_b32_e32 v4, v0
	s_lshl_b64 s[26:27], s[24:25], 4
	s_mov_b32 s11, s3
	s_add_nc_u64 s[26:27], s[22:23], s[26:27]
.LBB0_2:                                ; =>This Inner Loop Header: Depth=1
	s_delay_alu instid0(VALU_DEP_1) | instskip(NEXT) | instid1(VALU_DEP_1)
	v_and_b32_e32 v1, 0xffff, v4
	v_mul_u32_u24_e32 v1, 0xc1e5, v1
	s_delay_alu instid0(VALU_DEP_1) | instskip(NEXT) | instid1(VALU_DEP_1)
	v_lshrrev_b32_e32 v9, 23, v1
	v_mul_lo_u16 v1, 0xa9, v9
	s_delay_alu instid0(VALU_DEP_1) | instskip(SKIP_1) | instid1(VALU_DEP_2)
	v_sub_nc_u16 v1, v4, v1
	v_add_nc_u32_e32 v4, 0x9c, v4
	v_and_b32_e32 v8, 0xffff, v1
	s_delay_alu instid0(VALU_DEP_1) | instskip(NEXT) | instid1(VALU_DEP_1)
	v_mad_co_u64_u32 v[6:7], null, s16, v8, 0
	v_mov_b32_e32 v1, v7
	s_delay_alu instid0(VALU_DEP_1) | instskip(SKIP_1) | instid1(VALU_DEP_2)
	v_mad_co_u64_u32 v[7:8], null, s17, v8, v[1:2]
	v_mul_lo_u32 v1, s18, v9
	v_lshlrev_b64_e32 v[6:7], 4, v[6:7]
	s_delay_alu instid0(VALU_DEP_2) | instskip(NEXT) | instid1(VALU_DEP_2)
	v_lshlrev_b64_e32 v[8:9], 4, v[1:2]
	v_add_co_u32 v1, vcc_lo, s26, v6
	s_wait_alu 0xfffd
	s_delay_alu instid0(VALU_DEP_3) | instskip(NEXT) | instid1(VALU_DEP_2)
	v_add_co_ci_u32_e32 v7, vcc_lo, s27, v7, vcc_lo
	v_add_co_u32 v6, vcc_lo, v1, v8
	s_wait_alu 0xfffd
	s_delay_alu instid0(VALU_DEP_2)
	v_add_co_ci_u32_e32 v7, vcc_lo, v7, v9, vcc_lo
	v_cmp_lt_u32_e32 vcc_lo, 0x7eb, v4
	global_load_b128 v[6:9], v[6:7], off
	s_or_b32 s11, vcc_lo, s11
	s_wait_loadcnt 0x0
	ds_store_b128 v5, v[6:9]
	v_add_nc_u32_e32 v5, 0x9c0, v5
	s_and_not1_b32 exec_lo, exec_lo, s11
	s_cbranch_execnz .LBB0_2
; %bb.3:
	s_or_b32 exec_lo, exec_lo, s11
	s_mov_b32 s11, 0
.LBB0_4:
	v_and_b32_e32 v1, 0xffff, v0
	s_and_b32 vcc_lo, exec_lo, s11
	s_wait_alu 0xfffe
	s_cbranch_vccz .LBB0_6
; %bb.5:
	v_dual_mov_b32 v37, 0 :: v_dual_add_nc_u32 v2, 0x9c, v0
	v_mul_u32_u24_e32 v4, 0x184, v1
	v_add_nc_u32_e32 v8, 0x138, v0
	s_lshl_b64 s[24:25], s[24:25], 4
	s_delay_alu instid0(VALU_DEP_3)
	v_mul_u32_u24_e32 v5, 0x184, v2
	s_add_nc_u64 s[22:23], s[22:23], s[24:25]
	v_lshrrev_b32_e32 v4, 16, v4
	v_mul_u32_u24_e32 v6, 0x184, v8
	v_add_nc_u32_e32 v34, 0x4e0, v0
	v_lshrrev_b32_e32 v16, 16, v5
	v_add_nc_u32_e32 v40, 0x57c, v0
	v_mul_lo_u16 v5, 0xa9, v4
	v_mul_lo_u32 v36, s18, v4
	v_lshrrev_b32_e32 v19, 16, v6
	v_mul_lo_u16 v7, 0xa9, v16
	v_add_nc_u32_e32 v46, 0x6b4, v0
	v_sub_nc_u16 v5, v0, v5
	v_add_nc_u32_e32 v50, 0x750, v0
	v_mul_lo_u16 v9, 0xa9, v19
	v_sub_nc_u16 v2, v2, v7
	v_mul_u32_u24_e32 v48, 0xc1f, v46
	v_and_b32_e32 v10, 0xffff, v5
	s_delay_alu instid0(VALU_DEP_3) | instskip(NEXT) | instid1(VALU_DEP_3)
	v_and_b32_e32 v14, 0xffff, v2
	v_lshrrev_b32_e32 v53, 19, v48
	s_delay_alu instid0(VALU_DEP_3) | instskip(NEXT) | instid1(VALU_DEP_1)
	v_mad_co_u64_u32 v[4:5], null, s16, v10, 0
	v_dual_mov_b32 v2, v5 :: v_dual_add_nc_u32 v17, 0x1d4, v0
	s_delay_alu instid0(VALU_DEP_1) | instskip(NEXT) | instid1(VALU_DEP_1)
	v_mul_u32_u24_e32 v6, 0x184, v17
	v_lshrrev_b32_e32 v20, 16, v6
	v_mad_co_u64_u32 v[6:7], null, s16, v14, 0
	s_delay_alu instid0(VALU_DEP_2) | instskip(NEXT) | instid1(VALU_DEP_2)
	v_mul_lo_u16 v22, 0xa9, v20
	v_mov_b32_e32 v5, v7
	v_sub_nc_u16 v11, v8, v9
	v_lshlrev_b64_e32 v[8:9], 4, v[36:37]
	v_mul_lo_u32 v36, s18, v16
	s_delay_alu instid0(VALU_DEP_4) | instskip(NEXT) | instid1(VALU_DEP_4)
	v_mad_co_u64_u32 v[14:15], null, s17, v14, v[5:6]
	v_and_b32_e32 v23, 0xffff, v11
	s_delay_alu instid0(VALU_DEP_1) | instskip(NEXT) | instid1(VALU_DEP_3)
	v_mad_co_u64_u32 v[12:13], null, s16, v23, 0
	v_mov_b32_e32 v7, v14
	v_mad_co_u64_u32 v[10:11], null, s17, v10, v[2:3]
	v_add_nc_u32_e32 v18, 0x270, v0
	v_sub_nc_u16 v2, v17, v22
	s_delay_alu instid0(VALU_DEP_4) | instskip(NEXT) | instid1(VALU_DEP_4)
	v_lshlrev_b64_e32 v[6:7], 4, v[6:7]
	v_mov_b32_e32 v5, v10
	s_delay_alu instid0(VALU_DEP_4) | instskip(NEXT) | instid1(VALU_DEP_4)
	v_mul_u32_u24_e32 v21, 0x184, v18
	v_and_b32_e32 v16, 0xffff, v2
	v_mov_b32_e32 v2, v13
	v_lshlrev_b64_e32 v[10:11], 4, v[36:37]
	v_lshlrev_b64_e32 v[4:5], 4, v[4:5]
	v_lshrrev_b32_e32 v22, 16, v21
	v_mul_lo_u32 v36, s18, v19
	v_mad_co_u64_u32 v[13:14], null, s17, v23, v[2:3]
	v_mad_co_u64_u32 v[14:15], null, s16, v16, 0
	v_add_co_u32 v2, vcc_lo, s22, v4
	v_mul_lo_u16 v17, 0xa9, v22
	v_add_nc_u32_e32 v21, 0x30c, v0
	s_wait_alu 0xfffd
	v_add_co_ci_u32_e32 v5, vcc_lo, s23, v5, vcc_lo
	v_add_co_u32 v6, vcc_lo, s22, v6
	s_wait_alu 0xfffd
	v_add_co_ci_u32_e32 v7, vcc_lo, s23, v7, vcc_lo
	v_add_co_u32 v4, vcc_lo, v2, v8
	v_mov_b32_e32 v2, v15
	v_sub_nc_u16 v17, v18, v17
	v_mul_u32_u24_e32 v18, 0xc1f, v21
	v_lshlrev_b64_e32 v[12:13], 4, v[12:13]
	s_wait_alu 0xfffd
	v_add_co_ci_u32_e32 v5, vcc_lo, v5, v9, vcc_lo
	v_and_b32_e32 v19, 0xffff, v17
	v_lshrrev_b32_e32 v23, 19, v18
	v_add_co_u32 v8, vcc_lo, v6, v10
	s_wait_alu 0xfffd
	v_add_co_ci_u32_e32 v9, vcc_lo, v7, v11, vcc_lo
	v_mad_co_u64_u32 v[15:16], null, s17, v16, v[2:3]
	v_mul_lo_u16 v24, 0xa9, v23
	v_add_co_u32 v2, vcc_lo, s22, v12
	v_mad_co_u64_u32 v[16:17], null, s16, v19, 0
	s_wait_alu 0xfffd
	v_add_co_ci_u32_e32 v18, vcc_lo, s23, v13, vcc_lo
	v_lshlrev_b64_e32 v[12:13], 4, v[36:37]
	v_sub_nc_u16 v21, v21, v24
	v_mul_lo_u32 v36, s18, v20
	v_lshlrev_b64_e32 v[14:15], 4, v[14:15]
	s_clause 0x1
	global_load_b128 v[4:7], v[4:5], off
	global_load_b128 v[8:11], v[8:9], off
	v_add_co_u32 v12, vcc_lo, v2, v12
	v_mov_b32_e32 v2, v17
	v_and_b32_e32 v24, 0xffff, v21
	s_wait_alu 0xfffd
	v_add_co_ci_u32_e32 v13, vcc_lo, v18, v13, vcc_lo
	v_lshlrev_b64_e32 v[20:21], 4, v[36:37]
	v_mad_co_u64_u32 v[17:18], null, s17, v19, v[2:3]
	v_mad_co_u64_u32 v[18:19], null, s16, v24, 0
	v_add_nc_u32_e32 v25, 0x3a8, v0
	v_add_co_u32 v14, vcc_lo, s22, v14
	s_wait_alu 0xfffd
	v_add_co_ci_u32_e32 v15, vcc_lo, s23, v15, vcc_lo
	v_mul_lo_u32 v36, s18, v22
	v_mov_b32_e32 v2, v19
	v_mul_u32_u24_e32 v26, 0xc1f, v25
	v_add_co_u32 v20, vcc_lo, v14, v20
	s_wait_alu 0xfffd
	v_add_co_ci_u32_e32 v21, vcc_lo, v15, v21, vcc_lo
	s_delay_alu instid0(VALU_DEP_3) | instskip(SKIP_3) | instid1(VALU_DEP_4)
	v_lshrrev_b32_e32 v32, 19, v26
	v_lshlrev_b64_e32 v[14:15], 4, v[16:17]
	v_mad_co_u64_u32 v[16:17], null, s17, v24, v[2:3]
	v_add_nc_u32_e32 v24, 0x444, v0
	v_mul_lo_u16 v19, 0xa9, v32
	s_delay_alu instid0(VALU_DEP_4) | instskip(NEXT) | instid1(VALU_DEP_2)
	v_add_co_u32 v22, vcc_lo, s22, v14
	v_sub_nc_u16 v2, v25, v19
	v_mov_b32_e32 v19, v16
	s_wait_alu 0xfffd
	v_add_co_ci_u32_e32 v25, vcc_lo, s23, v15, vcc_lo
	v_lshlrev_b64_e32 v[14:15], 4, v[36:37]
	v_and_b32_e32 v26, 0xffff, v2
	v_mul_u32_u24_e32 v2, 0xc1f, v24
	v_lshlrev_b64_e32 v[16:17], 4, v[18:19]
	v_mul_lo_u32 v36, s18, v23
	s_delay_alu instid0(VALU_DEP_4) | instskip(NEXT) | instid1(VALU_DEP_4)
	v_mad_co_u64_u32 v[28:29], null, s16, v26, 0
	v_lshrrev_b32_e32 v33, 19, v2
	v_add_co_u32 v22, vcc_lo, v22, v14
	s_wait_alu 0xfffd
	v_add_co_ci_u32_e32 v23, vcc_lo, v25, v15, vcc_lo
	s_delay_alu instid0(VALU_DEP_3) | instskip(SKIP_3) | instid1(VALU_DEP_4)
	v_mul_lo_u16 v18, 0xa9, v33
	v_lshlrev_b64_e32 v[14:15], 4, v[36:37]
	v_add_co_u32 v16, vcc_lo, s22, v16
	v_mul_lo_u32 v36, s18, v32
	v_sub_nc_u16 v18, v24, v18
	v_mov_b32_e32 v2, v29
	s_wait_alu 0xfffd
	v_add_co_ci_u32_e32 v17, vcc_lo, s23, v17, vcc_lo
	v_add_co_u32 v24, vcc_lo, v16, v14
	v_and_b32_e32 v35, 0xffff, v18
	v_mad_co_u64_u32 v[29:30], null, s17, v26, v[2:3]
	v_mul_u32_u24_e32 v2, 0xc1f, v34
	s_wait_alu 0xfffd
	v_add_co_ci_u32_e32 v25, vcc_lo, v17, v15, vcc_lo
	v_mad_co_u64_u32 v[30:31], null, s16, v35, 0
	s_delay_alu instid0(VALU_DEP_3)
	v_lshrrev_b32_e32 v42, 19, v2
	v_lshlrev_b64_e32 v[28:29], 4, v[28:29]
	s_clause 0x3
	global_load_b128 v[12:15], v[12:13], off
	global_load_b128 v[16:19], v[20:21], off
	;; [unrolled: 1-line block ×4, first 2 shown]
	v_mul_lo_u16 v38, 0xa9, v42
	v_mov_b32_e32 v2, v31
	s_delay_alu instid0(VALU_DEP_1) | instskip(SKIP_1) | instid1(VALU_DEP_4)
	v_mad_co_u64_u32 v[31:32], null, s17, v35, v[2:3]
	v_mul_u32_u24_e32 v32, 0xc1f, v40
	v_sub_nc_u16 v2, v34, v38
	v_add_co_u32 v34, vcc_lo, s22, v28
	s_wait_alu 0xfffd
	v_add_co_ci_u32_e32 v35, vcc_lo, s23, v29, vcc_lo
	v_lshrrev_b32_e32 v44, 19, v32
	v_and_b32_e32 v41, 0xffff, v2
	v_lshlrev_b64_e32 v[28:29], 4, v[36:37]
	v_mul_lo_u32 v36, s18, v33
	v_lshlrev_b64_e32 v[30:31], 4, v[30:31]
	v_mul_lo_u16 v32, 0xa9, v44
	v_mad_co_u64_u32 v[38:39], null, s16, v41, 0
	v_add_co_u32 v28, vcc_lo, v34, v28
	s_delay_alu instid0(VALU_DEP_3) | instskip(SKIP_3) | instid1(VALU_DEP_3)
	v_sub_nc_u16 v34, v40, v32
	s_wait_alu 0xfffd
	v_add_co_ci_u32_e32 v29, vcc_lo, v35, v29, vcc_lo
	v_add_co_u32 v35, vcc_lo, s22, v30
	v_dual_mov_b32 v2, v39 :: v_dual_and_b32 v43, 0xffff, v34
	s_wait_alu 0xfffd
	v_add_co_ci_u32_e32 v39, vcc_lo, s23, v31, vcc_lo
	v_lshlrev_b64_e32 v[30:31], 4, v[36:37]
	s_delay_alu instid0(VALU_DEP_3) | instskip(SKIP_2) | instid1(VALU_DEP_4)
	v_mad_co_u64_u32 v[32:33], null, s17, v41, v[2:3]
	v_mad_co_u64_u32 v[40:41], null, s16, v43, 0
	v_add_nc_u32_e32 v45, 0x618, v0
	v_add_co_u32 v33, vcc_lo, v35, v30
	s_wait_alu 0xfffd
	v_add_co_ci_u32_e32 v34, vcc_lo, v39, v31, vcc_lo
	s_delay_alu instid0(VALU_DEP_3)
	v_mul_u32_u24_e32 v2, 0xc1f, v45
	v_mov_b32_e32 v39, v32
	v_mul_lo_u32 v36, s18, v42
	s_clause 0x1
	global_load_b128 v[28:31], v[28:29], off
	global_load_b128 v[32:35], v[33:34], off
	v_lshrrev_b32_e32 v49, 19, v2
	v_mov_b32_e32 v2, v41
	v_lshlrev_b64_e32 v[38:39], 4, v[38:39]
	s_delay_alu instid0(VALU_DEP_3) | instskip(NEXT) | instid1(VALU_DEP_3)
	v_mul_lo_u16 v47, 0xa9, v49
	v_mad_co_u64_u32 v[41:42], null, s17, v43, v[2:3]
	v_mul_u32_u24_e32 v42, 0xc1f, v50
	s_delay_alu instid0(VALU_DEP_3) | instskip(SKIP_1) | instid1(VALU_DEP_3)
	v_sub_nc_u16 v2, v45, v47
	v_add_co_u32 v45, vcc_lo, s22, v38
	v_lshrrev_b32_e32 v54, 19, v42
	s_wait_alu 0xfffd
	v_add_co_ci_u32_e32 v47, vcc_lo, s23, v39, vcc_lo
	v_and_b32_e32 v48, 0xffff, v2
	v_mul_lo_u16 v2, 0xa9, v53
	v_lshlrev_b64_e32 v[38:39], 4, v[36:37]
	v_mul_lo_u16 v36, 0xa9, v54
	v_lshlrev_b64_e32 v[40:41], 4, v[40:41]
	v_mad_co_u64_u32 v[42:43], null, s16, v48, 0
	v_sub_nc_u16 v2, v46, v2
	v_add_co_u32 v38, vcc_lo, v45, v38
	v_sub_nc_u16 v45, v50, v36
	v_mul_lo_u32 v36, s18, v44
	s_delay_alu instid0(VALU_DEP_4)
	v_and_b32_e32 v50, 0xffff, v2
	v_mov_b32_e32 v2, v43
	s_wait_alu 0xfffd
	v_add_co_ci_u32_e32 v39, vcc_lo, v47, v39, vcc_lo
	v_and_b32_e32 v51, 0xffff, v45
	v_mad_co_u64_u32 v[44:45], null, s16, v50, 0
	v_mad_co_u64_u32 v[46:47], null, s17, v48, v[2:3]
	s_delay_alu instid0(VALU_DEP_3) | instskip(SKIP_1) | instid1(VALU_DEP_4)
	v_mad_co_u64_u32 v[47:48], null, s16, v51, 0
	v_add_co_u32 v52, vcc_lo, s22, v40
	v_mov_b32_e32 v2, v45
	s_wait_alu 0xfffd
	v_add_co_ci_u32_e32 v55, vcc_lo, s23, v41, vcc_lo
	v_mov_b32_e32 v43, v46
	v_lshlrev_b64_e32 v[40:41], 4, v[36:37]
	v_mul_lo_u32 v36, s18, v49
	v_mad_co_u64_u32 v[45:46], null, s17, v50, v[2:3]
	v_mov_b32_e32 v2, v48
	v_lshlrev_b64_e32 v[42:43], 4, v[42:43]
	v_add_co_u32 v40, vcc_lo, v52, v40
	s_wait_alu 0xfffd
	v_add_co_ci_u32_e32 v41, vcc_lo, v55, v41, vcc_lo
	v_mad_co_u64_u32 v[51:52], null, s17, v51, v[2:3]
	v_lshlrev_b64_e32 v[49:50], 4, v[36:37]
	v_mul_lo_u32 v36, s18, v53
	v_add_co_u32 v2, vcc_lo, s22, v42
	s_wait_alu 0xfffd
	v_add_co_ci_u32_e32 v46, vcc_lo, s23, v43, vcc_lo
	v_mov_b32_e32 v48, v51
	v_lshlrev_b64_e32 v[42:43], 4, v[44:45]
	v_add_co_u32 v44, vcc_lo, v2, v49
	s_wait_alu 0xfffd
	v_add_co_ci_u32_e32 v45, vcc_lo, v46, v50, vcc_lo
	v_lshlrev_b64_e32 v[49:50], 4, v[36:37]
	v_mul_lo_u32 v36, s18, v54
	v_lshlrev_b64_e32 v[46:47], 4, v[47:48]
	v_add_co_u32 v2, vcc_lo, s22, v42
	s_wait_alu 0xfffd
	v_add_co_ci_u32_e32 v42, vcc_lo, s23, v43, vcc_lo
	s_delay_alu instid0(VALU_DEP_3)
	v_add_co_u32 v43, vcc_lo, s22, v46
	v_lshlrev_b64_e32 v[36:37], 4, v[36:37]
	s_wait_alu 0xfffd
	v_add_co_ci_u32_e32 v46, vcc_lo, s23, v47, vcc_lo
	v_add_co_u32 v48, vcc_lo, v2, v49
	s_wait_alu 0xfffd
	v_add_co_ci_u32_e32 v49, vcc_lo, v42, v50, vcc_lo
	v_add_co_u32 v52, vcc_lo, v43, v36
	s_wait_alu 0xfffd
	v_add_co_ci_u32_e32 v53, vcc_lo, v46, v37, vcc_lo
	s_clause 0x4
	global_load_b128 v[36:39], v[38:39], off
	global_load_b128 v[40:43], v[40:41], off
	;; [unrolled: 1-line block ×5, first 2 shown]
	s_wait_loadcnt 0xc
	ds_store_b128 v3, v[4:7]
	s_wait_loadcnt 0xb
	ds_store_b128 v3, v[8:11] offset:2496
	s_wait_loadcnt 0xa
	ds_store_b128 v3, v[12:15] offset:4992
	;; [unrolled: 2-line block ×12, first 2 shown]
.LBB0_6:
	s_delay_alu instid0(VALU_DEP_1)
	v_mul_u32_u24_e32 v1, 0x13b2, v1
	v_mul_hi_u32 v3, 0x13b13b14, v0
	global_wb scope:SCOPE_SE
	s_wait_dscnt 0x0
	s_barrier_signal -1
	s_barrier_wait -1
	v_lshrrev_b32_e32 v1, 16, v1
	global_inv scope:SCOPE_SE
	s_mov_b32 s54, 0x4267c47c
	s_mov_b32 s38, 0x42a4c3d2
	;; [unrolled: 1-line block ×3, first 2 shown]
	v_add_nc_u32_e32 v1, s14, v1
	s_mov_b32 s34, 0x2ef20147
	s_mov_b32 s40, 0x24c2f84
	s_mov_b32 s30, 0x4bc48dbf
	s_mov_b32 s26, 0x1ea71119
	v_mul_hi_u32 v2, 0xaaaaaaab, v1
	s_mov_b32 s24, 0xebaa3ed8
	s_mov_b32 s55, 0xbfddbe06
	;; [unrolled: 1-line block ×7, first 2 shown]
	v_lshrrev_b32_e32 v2, 3, v2
	s_mov_b32 s27, 0x3fe22d96
	s_mov_b32 s25, 0x3fbedb7d
	;; [unrolled: 1-line block ×4, first 2 shown]
	v_mul_lo_u32 v2, v2, 12
	s_mov_b32 s18, 0xd0032e0c
	s_mov_b32 s16, 0x93053d00
	;; [unrolled: 1-line block ×7, first 2 shown]
	v_sub_nc_u32_e32 v1, v1, v2
	v_mul_u32_u24_e32 v2, 13, v3
	s_mov_b32 s47, 0x3fefc445
	s_mov_b32 s48, s38
	;; [unrolled: 1-line block ×3, first 2 shown]
	v_mul_u32_u24_e32 v1, 0xa9, v1
	v_sub_nc_u32_e32 v46, v0, v2
	s_mov_b32 s51, 0x3fddbe06
	s_mov_b32 s45, 0x3fedeba7
	;; [unrolled: 1-line block ×3, first 2 shown]
	v_lshlrev_b32_e32 v1, 4, v1
	v_lshlrev_b32_e32 v2, 4, v46
	s_mov_b32 s37, 0x3fcea1e5
	s_mov_b32 s50, s54
	s_mov_b32 s44, s34
	v_add_nc_u32_e32 v47, 0, v1
	v_add3_u32 v109, 0, v2, v1
	s_mov_b32 s42, s40
	s_mov_b32 s36, s30
	s_delay_alu instid0(VALU_DEP_2)
	v_add_nc_u32_e32 v45, v47, v2
	ds_load_b128 v[5:8], v109 offset:208
	ds_load_b128 v[1:4], v45
	ds_load_b128 v[9:12], v109 offset:416
	ds_load_b128 v[13:16], v109 offset:624
	s_wait_dscnt 0x2
	v_add_f64_e32 v[17:18], v[1:2], v[5:6]
	v_add_f64_e32 v[19:20], v[3:4], v[7:8]
	s_wait_dscnt 0x1
	s_delay_alu instid0(VALU_DEP_2) | instskip(NEXT) | instid1(VALU_DEP_2)
	v_add_f64_e32 v[17:18], v[17:18], v[9:10]
	v_add_f64_e32 v[19:20], v[19:20], v[11:12]
	s_wait_dscnt 0x0
	s_delay_alu instid0(VALU_DEP_2) | instskip(NEXT) | instid1(VALU_DEP_2)
	v_add_f64_e32 v[25:26], v[17:18], v[13:14]
	v_add_f64_e32 v[27:28], v[19:20], v[15:16]
	ds_load_b128 v[17:20], v109 offset:832
	ds_load_b128 v[21:24], v109 offset:1040
	;; [unrolled: 1-line block ×4, first 2 shown]
	s_wait_dscnt 0x0
	v_add_f64_e32 v[29:30], v[33:34], v[37:38]
	v_add_f64_e32 v[25:26], v[25:26], v[17:18]
	;; [unrolled: 1-line block ×3, first 2 shown]
	s_wait_alu 0xfffe
	s_delay_alu instid0(VALU_DEP_3)
	v_mul_f64_e32 v[130:131], s[16:17], v[29:30]
	v_mul_f64_e32 v[150:151], s[28:29], v[29:30]
	;; [unrolled: 1-line block ×5, first 2 shown]
	v_add_f64_e32 v[25:26], v[25:26], v[21:22]
	v_add_f64_e32 v[27:28], v[27:28], v[23:24]
	s_delay_alu instid0(VALU_DEP_2) | instskip(NEXT) | instid1(VALU_DEP_2)
	v_add_f64_e32 v[39:40], v[25:26], v[31:32]
	v_add_f64_e32 v[41:42], v[27:28], v[33:34]
	;; [unrolled: 1-line block ×3, first 2 shown]
	v_add_f64_e64 v[27:28], v[31:32], -v[35:36]
	v_add_f64_e64 v[31:32], v[33:34], -v[37:38]
	v_add_f64_e32 v[43:44], v[39:40], v[35:36]
	v_add_f64_e32 v[48:49], v[41:42], v[37:38]
	ds_load_b128 v[39:42], v109 offset:1664
	v_mul_f64_e32 v[128:129], s[30:31], v[31:32]
	v_mul_f64_e32 v[148:149], s[50:51], v[31:32]
	;; [unrolled: 1-line block ×4, first 2 shown]
	s_wait_dscnt 0x0
	v_add_f64_e32 v[35:36], v[23:24], v[41:42]
	v_add_f64_e64 v[37:38], v[23:24], -v[41:42]
	v_add_f64_e32 v[33:34], v[21:22], v[39:40]
	v_add_f64_e64 v[21:22], v[21:22], -v[39:40]
	v_add_f64_e32 v[50:51], v[43:44], v[39:40]
	v_add_f64_e32 v[48:49], v[48:49], v[41:42]
	ds_load_b128 v[41:44], v109 offset:1872
	s_wait_dscnt 0x0
	v_add_f64_e64 v[39:40], v[19:20], -v[43:44]
	v_add_f64_e32 v[23:24], v[17:18], v[41:42]
	v_add_f64_e32 v[19:20], v[19:20], v[43:44]
	v_add_f64_e64 v[17:18], v[17:18], -v[41:42]
	v_mul_f64_e32 v[124:125], s[40:41], v[37:38]
	v_mul_f64_e32 v[126:127], s[18:19], v[35:36]
	;; [unrolled: 1-line block ×8, first 2 shown]
	v_add_f64_e32 v[52:53], v[50:51], v[41:42]
	v_add_f64_e32 v[54:55], v[48:49], v[43:44]
	ds_load_b128 v[48:51], v109 offset:2080
	s_wait_dscnt 0x0
	v_add_f64_e64 v[43:44], v[15:16], -v[50:51]
	v_add_f64_e32 v[41:42], v[15:16], v[50:51]
	v_add_f64_e32 v[15:16], v[13:14], v[48:49]
	v_add_f64_e64 v[13:14], v[13:14], -v[48:49]
	v_mul_f64_e32 v[120:121], s[34:35], v[39:40]
	v_mul_f64_e32 v[122:123], s[22:23], v[19:20]
	;; [unrolled: 1-line block ×8, first 2 shown]
	v_add_f64_e32 v[52:53], v[52:53], v[48:49]
	v_add_f64_e32 v[54:55], v[54:55], v[50:51]
	ds_load_b128 v[48:51], v109 offset:2288
	s_wait_dscnt 0x0
	v_add_f64_e64 v[60:61], v[11:12], -v[50:51]
	v_add_f64_e32 v[62:63], v[11:12], v[50:51]
	v_add_f64_e32 v[76:77], v[9:10], v[48:49]
	v_add_f64_e64 v[78:79], v[9:10], -v[48:49]
	ds_load_b128 v[9:12], v109 offset:2496
	v_mul_f64_e32 v[116:117], s[52:53], v[43:44]
	v_mul_f64_e32 v[118:119], s[24:25], v[41:42]
	;; [unrolled: 1-line block ×6, first 2 shown]
	global_wb scope:SCOPE_SE
	s_wait_dscnt 0x0
	s_barrier_signal -1
	s_barrier_wait -1
	global_inv scope:SCOPE_SE
	v_add_f64_e32 v[48:49], v[52:53], v[48:49]
	v_add_f64_e32 v[50:51], v[54:55], v[50:51]
	v_add_f64_e64 v[52:53], v[7:8], -v[11:12]
	v_add_f64_e32 v[54:55], v[7:8], v[11:12]
	v_add_f64_e32 v[56:57], v[5:6], v[9:10]
	v_add_f64_e64 v[58:59], v[5:6], -v[9:10]
	v_mul_f64_e32 v[112:113], s[38:39], v[60:61]
	v_mul_f64_e32 v[114:115], s[26:27], v[62:63]
	;; [unrolled: 1-line block ×6, first 2 shown]
	v_add_f64_e32 v[5:6], v[48:49], v[9:10]
	v_add_f64_e32 v[7:8], v[50:51], v[11:12]
	v_mul_f64_e32 v[9:10], s[54:55], v[52:53]
	v_mul_f64_e32 v[11:12], s[38:39], v[52:53]
	;; [unrolled: 1-line block ×10, first 2 shown]
	v_fma_f64 v[66:67], v[56:57], s[28:29], v[9:10]
	v_fma_f64 v[9:10], v[56:57], s[28:29], -v[9:10]
	v_fma_f64 v[68:69], v[56:57], s[26:27], v[11:12]
	v_fma_f64 v[11:12], v[56:57], s[26:27], -v[11:12]
	;; [unrolled: 2-line block ×6, first 2 shown]
	v_mul_f64_e32 v[56:57], s[28:29], v[54:55]
	v_mul_f64_e32 v[54:55], s[16:17], v[54:55]
	v_fma_f64 v[92:93], v[58:59], s[48:49], v[82:83]
	v_fma_f64 v[94:95], v[58:59], s[46:47], v[84:85]
	;; [unrolled: 1-line block ×8, first 2 shown]
	v_add_f64_e32 v[102:103], v[1:2], v[66:67]
	v_add_f64_e32 v[9:10], v[1:2], v[9:10]
	;; [unrolled: 1-line block ×8, first 2 shown]
	v_fma_f64 v[90:91], v[58:59], s[50:51], v[56:57]
	v_fma_f64 v[56:57], v[58:59], s[54:55], v[56:57]
	;; [unrolled: 1-line block ×4, first 2 shown]
	v_add_f64_e32 v[58:59], v[1:2], v[68:69]
	v_add_f64_e32 v[66:67], v[3:4], v[92:93]
	;; [unrolled: 1-line block ×6, first 2 shown]
	v_fma_f64 v[1:2], v[76:77], s[26:27], -v[112:113]
	v_add_f64_e32 v[82:83], v[3:4], v[82:83]
	v_add_f64_e32 v[84:85], v[3:4], v[84:85]
	;; [unrolled: 1-line block ×6, first 2 shown]
	v_fma_f64 v[11:12], v[78:79], s[44:45], v[134:135]
	v_fma_f64 v[48:49], v[15:16], s[16:17], v[136:137]
	v_add_f64_e32 v[90:91], v[3:4], v[90:91]
	v_add_f64_e32 v[56:57], v[3:4], v[56:57]
	;; [unrolled: 1-line block ×4, first 2 shown]
	v_fma_f64 v[3:4], v[78:79], s[38:39], v[114:115]
	v_add_f64_e32 v[1:2], v[1:2], v[9:10]
	v_fma_f64 v[9:10], v[15:16], s[24:25], -v[116:117]
	v_add_f64_e32 v[11:12], v[11:12], v[66:67]
	v_mul_f64_e32 v[66:67], s[42:43], v[60:61]
	v_mul_f64_e32 v[60:61], s[50:51], v[60:61]
	v_add_f64_e32 v[3:4], v[3:4], v[56:57]
	v_add_f64_e32 v[1:2], v[9:10], v[1:2]
	v_fma_f64 v[9:10], v[13:14], s[52:53], v[118:119]
	s_delay_alu instid0(VALU_DEP_1) | instskip(SKIP_1) | instid1(VALU_DEP_1)
	v_add_f64_e32 v[3:4], v[9:10], v[3:4]
	v_fma_f64 v[9:10], v[23:24], s[22:23], -v[120:121]
	v_add_f64_e32 v[1:2], v[9:10], v[1:2]
	v_fma_f64 v[9:10], v[17:18], s[34:35], v[122:123]
	s_delay_alu instid0(VALU_DEP_1) | instskip(SKIP_1) | instid1(VALU_DEP_1)
	v_add_f64_e32 v[3:4], v[9:10], v[3:4]
	v_fma_f64 v[9:10], v[33:34], s[18:19], -v[124:125]
	;; [unrolled: 5-line block ×3, first 2 shown]
	v_add_f64_e32 v[1:2], v[9:10], v[1:2]
	v_fma_f64 v[9:10], v[27:28], s[30:31], v[130:131]
	s_delay_alu instid0(VALU_DEP_1) | instskip(SKIP_1) | instid1(VALU_DEP_1)
	v_add_f64_e32 v[3:4], v[9:10], v[3:4]
	v_fma_f64 v[9:10], v[76:77], s[22:23], v[132:133]
	v_add_f64_e32 v[9:10], v[9:10], v[58:59]
	s_delay_alu instid0(VALU_DEP_1) | instskip(SKIP_1) | instid1(VALU_DEP_1)
	v_add_f64_e32 v[9:10], v[48:49], v[9:10]
	v_fma_f64 v[48:49], v[13:14], s[36:37], v[138:139]
	v_add_f64_e32 v[11:12], v[48:49], v[11:12]
	v_fma_f64 v[48:49], v[23:24], s[18:19], v[140:141]
	s_delay_alu instid0(VALU_DEP_1) | instskip(SKIP_1) | instid1(VALU_DEP_1)
	v_add_f64_e32 v[9:10], v[48:49], v[9:10]
	v_fma_f64 v[48:49], v[17:18], s[40:41], v[142:143]
	v_add_f64_e32 v[11:12], v[48:49], v[11:12]
	v_fma_f64 v[48:49], v[33:34], s[24:25], v[144:145]
	;; [unrolled: 5-line block ×4, first 2 shown]
	s_delay_alu instid0(VALU_DEP_1) | instskip(SKIP_1) | instid1(VALU_DEP_1)
	v_add_f64_e32 v[48:49], v[48:49], v[68:69]
	v_mul_f64_e32 v[68:69], s[16:17], v[62:63]
	v_fma_f64 v[50:51], v[78:79], s[36:37], v[68:69]
	s_delay_alu instid0(VALU_DEP_1) | instskip(SKIP_1) | instid1(VALU_DEP_1)
	v_add_f64_e32 v[50:51], v[50:51], v[70:71]
	v_mul_f64_e32 v[70:71], s[44:45], v[43:44]
	v_fma_f64 v[52:53], v[15:16], s[22:23], v[70:71]
	s_delay_alu instid0(VALU_DEP_1) | instskip(SKIP_1) | instid1(VALU_DEP_1)
	v_add_f64_e32 v[48:49], v[52:53], v[48:49]
	v_fma_f64 v[52:53], v[13:14], s[34:35], v[154:155]
	v_add_f64_e32 v[50:51], v[52:53], v[50:51]
	v_fma_f64 v[52:53], v[23:24], s[28:29], v[156:157]
	s_delay_alu instid0(VALU_DEP_1) | instskip(SKIP_1) | instid1(VALU_DEP_1)
	v_add_f64_e32 v[48:49], v[52:53], v[48:49]
	v_fma_f64 v[52:53], v[17:18], s[54:55], v[158:159]
	v_add_f64_e32 v[50:51], v[52:53], v[50:51]
	;; [unrolled: 5-line block ×4, first 2 shown]
	v_fma_f64 v[52:53], v[76:77], s[18:19], v[66:67]
	s_delay_alu instid0(VALU_DEP_1) | instskip(SKIP_1) | instid1(VALU_DEP_1)
	v_add_f64_e32 v[52:53], v[52:53], v[72:73]
	v_mul_f64_e32 v[72:73], s[18:19], v[62:63]
	v_fma_f64 v[54:55], v[78:79], s[40:41], v[72:73]
	s_delay_alu instid0(VALU_DEP_1) | instskip(SKIP_1) | instid1(VALU_DEP_1)
	v_add_f64_e32 v[54:55], v[54:55], v[96:97]
	v_mul_f64_e32 v[96:97], s[50:51], v[43:44]
	v_fma_f64 v[56:57], v[15:16], s[28:29], v[96:97]
	s_delay_alu instid0(VALU_DEP_1) | instskip(SKIP_1) | instid1(VALU_DEP_1)
	v_add_f64_e32 v[52:53], v[56:57], v[52:53]
	v_fma_f64 v[56:57], v[13:14], s[54:55], v[168:169]
	v_add_f64_e32 v[54:55], v[56:57], v[54:55]
	v_fma_f64 v[56:57], v[23:24], s[24:25], v[170:171]
	s_delay_alu instid0(VALU_DEP_1) | instskip(SKIP_1) | instid1(VALU_DEP_1)
	v_add_f64_e32 v[52:53], v[56:57], v[52:53]
	v_fma_f64 v[56:57], v[17:18], s[46:47], v[172:173]
	v_add_f64_e32 v[54:55], v[56:57], v[54:55]
	v_fma_f64 v[56:57], v[33:34], s[16:17], v[174:175]
	s_delay_alu instid0(VALU_DEP_1) | instskip(SKIP_1) | instid1(VALU_DEP_1)
	v_add_f64_e32 v[52:53], v[56:57], v[52:53]
	v_fma_f64 v[56:57], v[21:22], s[30:31], v[176:177]
	v_add_f64_e32 v[54:55], v[56:57], v[54:55]
	v_fma_f64 v[56:57], v[25:26], s[26:27], v[178:179]
	s_delay_alu instid0(VALU_DEP_1) | instskip(SKIP_1) | instid1(VALU_DEP_1)
	v_add_f64_e32 v[52:53], v[56:57], v[52:53]
	v_fma_f64 v[56:57], v[27:28], s[38:39], v[180:181]
	v_add_f64_e32 v[54:55], v[56:57], v[54:55]
	v_fma_f64 v[56:57], v[76:77], s[24:25], v[182:183]
	s_delay_alu instid0(VALU_DEP_1) | instskip(SKIP_2) | instid1(VALU_DEP_2)
	v_add_f64_e32 v[56:57], v[56:57], v[74:75]
	v_mul_f64_e32 v[74:75], s[24:25], v[62:63]
	v_mul_f64_e32 v[62:63], s[28:29], v[62:63]
	v_fma_f64 v[58:59], v[78:79], s[52:53], v[74:75]
	s_delay_alu instid0(VALU_DEP_1) | instskip(SKIP_2) | instid1(VALU_DEP_2)
	v_add_f64_e32 v[58:59], v[58:59], v[98:99]
	v_mul_f64_e32 v[98:99], s[38:39], v[43:44]
	v_mul_f64_e32 v[43:44], s[40:41], v[43:44]
	;; [unrolled: 5-line block ×7, first 2 shown]
	v_fma_f64 v[194:195], v[21:22], s[54:55], v[192:193]
	s_delay_alu instid0(VALU_DEP_1) | instskip(SKIP_1) | instid1(VALU_DEP_1)
	v_add_f64_e32 v[58:59], v[194:195], v[58:59]
	v_mul_f64_e32 v[194:195], s[34:35], v[31:32]
	v_fma_f64 v[196:197], v[25:26], s[22:23], v[194:195]
	s_delay_alu instid0(VALU_DEP_1) | instskip(SKIP_1) | instid1(VALU_DEP_1)
	v_add_f64_e32 v[56:57], v[196:197], v[56:57]
	v_mul_f64_e32 v[196:197], s[22:23], v[29:30]
	v_fma_f64 v[198:199], v[27:28], s[44:45], v[196:197]
	s_delay_alu instid0(VALU_DEP_1) | instskip(SKIP_2) | instid1(VALU_DEP_2)
	v_add_f64_e32 v[58:59], v[198:199], v[58:59]
	v_fma_f64 v[198:199], v[76:77], s[28:29], v[60:61]
	v_fma_f64 v[60:61], v[76:77], s[28:29], -v[60:61]
	v_add_f64_e32 v[80:81], v[198:199], v[80:81]
	v_fma_f64 v[198:199], v[78:79], s[54:55], v[62:63]
	v_fma_f64 v[62:63], v[78:79], s[50:51], v[62:63]
	s_delay_alu instid0(VALU_DEP_4) | instskip(NEXT) | instid1(VALU_DEP_3)
	v_add_f64_e32 v[60:61], v[60:61], v[106:107]
	v_add_f64_e32 v[100:101], v[198:199], v[100:101]
	v_fma_f64 v[198:199], v[15:16], s[18:19], v[43:44]
	s_delay_alu instid0(VALU_DEP_4) | instskip(SKIP_1) | instid1(VALU_DEP_3)
	v_add_f64_e32 v[62:63], v[62:63], v[110:111]
	v_fma_f64 v[43:44], v[15:16], s[18:19], -v[43:44]
	v_add_f64_e32 v[80:81], v[198:199], v[80:81]
	v_fma_f64 v[198:199], v[13:14], s[42:43], v[41:42]
	v_fma_f64 v[41:42], v[13:14], s[40:41], v[41:42]
	s_delay_alu instid0(VALU_DEP_4) | instskip(NEXT) | instid1(VALU_DEP_3)
	v_add_f64_e32 v[43:44], v[43:44], v[60:61]
	v_add_f64_e32 v[100:101], v[198:199], v[100:101]
	v_fma_f64 v[198:199], v[23:24], s[26:27], v[39:40]
	s_delay_alu instid0(VALU_DEP_4) | instskip(SKIP_1) | instid1(VALU_DEP_3)
	v_add_f64_e32 v[41:42], v[41:42], v[62:63]
	v_fma_f64 v[39:40], v[23:24], s[26:27], -v[39:40]
	v_add_f64_e32 v[80:81], v[198:199], v[80:81]
	v_fma_f64 v[198:199], v[17:18], s[38:39], v[19:20]
	v_fma_f64 v[19:20], v[17:18], s[48:49], v[19:20]
	s_delay_alu instid0(VALU_DEP_4) | instskip(SKIP_1) | instid1(VALU_DEP_4)
	v_add_f64_e32 v[39:40], v[39:40], v[43:44]
	v_fma_f64 v[43:44], v[27:28], s[34:35], v[196:197]
	v_add_f64_e32 v[100:101], v[198:199], v[100:101]
	v_fma_f64 v[198:199], v[33:34], s[22:23], v[37:38]
	v_add_f64_e32 v[19:20], v[19:20], v[41:42]
	v_fma_f64 v[37:38], v[33:34], s[22:23], -v[37:38]
	v_fma_f64 v[41:42], v[15:16], s[26:27], -v[98:99]
	s_delay_alu instid0(VALU_DEP_4) | instskip(SKIP_4) | instid1(VALU_DEP_4)
	v_add_f64_e32 v[80:81], v[198:199], v[80:81]
	v_fma_f64 v[198:199], v[21:22], s[44:45], v[35:36]
	v_fma_f64 v[35:36], v[21:22], s[34:35], v[35:36]
	v_add_f64_e32 v[37:38], v[37:38], v[39:40]
	v_fma_f64 v[39:40], v[27:28], s[46:47], v[200:201]
	v_add_f64_e32 v[100:101], v[198:199], v[100:101]
	v_mul_f64_e32 v[198:199], s[46:47], v[31:32]
	v_add_f64_e32 v[19:20], v[35:36], v[19:20]
	v_fma_f64 v[31:32], v[27:28], s[52:53], v[200:201]
	s_delay_alu instid0(VALU_DEP_3) | instskip(SKIP_1) | instid1(VALU_DEP_3)
	v_fma_f64 v[35:36], v[25:26], s[24:25], -v[198:199]
	v_fma_f64 v[29:30], v[25:26], s[24:25], v[198:199]
	v_add_f64_e32 v[31:32], v[31:32], v[100:101]
	s_delay_alu instid0(VALU_DEP_3) | instskip(SKIP_4) | instid1(VALU_DEP_3)
	v_add_f64_e32 v[35:36], v[35:36], v[37:38]
	v_add_f64_e32 v[37:38], v[39:40], v[19:20]
	v_fma_f64 v[19:20], v[76:77], s[24:25], -v[182:183]
	v_fma_f64 v[39:40], v[78:79], s[46:47], v[74:75]
	v_add_f64_e32 v[29:30], v[29:30], v[80:81]
	v_add_f64_e32 v[19:20], v[19:20], v[64:65]
	s_delay_alu instid0(VALU_DEP_3) | instskip(NEXT) | instid1(VALU_DEP_2)
	v_add_f64_e32 v[39:40], v[39:40], v[88:89]
	v_add_f64_e32 v[19:20], v[41:42], v[19:20]
	v_fma_f64 v[41:42], v[13:14], s[38:39], v[184:185]
	s_delay_alu instid0(VALU_DEP_1) | instskip(SKIP_1) | instid1(VALU_DEP_1)
	v_add_f64_e32 v[39:40], v[41:42], v[39:40]
	v_fma_f64 v[41:42], v[23:24], s[16:17], -v[186:187]
	v_add_f64_e32 v[19:20], v[41:42], v[19:20]
	v_fma_f64 v[41:42], v[17:18], s[36:37], v[188:189]
	s_delay_alu instid0(VALU_DEP_1) | instskip(SKIP_1) | instid1(VALU_DEP_1)
	v_add_f64_e32 v[39:40], v[41:42], v[39:40]
	v_fma_f64 v[41:42], v[33:34], s[28:29], -v[190:191]
	v_add_f64_e32 v[19:20], v[41:42], v[19:20]
	v_fma_f64 v[41:42], v[21:22], s[50:51], v[192:193]
	s_delay_alu instid0(VALU_DEP_1) | instskip(SKIP_1) | instid1(VALU_DEP_2)
	v_add_f64_e32 v[39:40], v[41:42], v[39:40]
	v_fma_f64 v[41:42], v[25:26], s[22:23], -v[194:195]
	v_add_f64_e32 v[62:63], v[43:44], v[39:40]
	s_delay_alu instid0(VALU_DEP_2) | instskip(SKIP_4) | instid1(VALU_DEP_4)
	v_add_f64_e32 v[60:61], v[41:42], v[19:20]
	v_fma_f64 v[19:20], v[76:77], s[18:19], -v[66:67]
	v_fma_f64 v[39:40], v[78:79], s[42:43], v[72:73]
	v_fma_f64 v[41:42], v[15:16], s[28:29], -v[96:97]
	v_fma_f64 v[43:44], v[27:28], s[48:49], v[180:181]
	v_add_f64_e32 v[19:20], v[19:20], v[104:105]
	s_delay_alu instid0(VALU_DEP_4) | instskip(NEXT) | instid1(VALU_DEP_2)
	v_add_f64_e32 v[39:40], v[39:40], v[86:87]
	v_add_f64_e32 v[19:20], v[41:42], v[19:20]
	v_fma_f64 v[41:42], v[13:14], s[50:51], v[168:169]
	s_delay_alu instid0(VALU_DEP_1) | instskip(SKIP_1) | instid1(VALU_DEP_1)
	v_add_f64_e32 v[39:40], v[41:42], v[39:40]
	v_fma_f64 v[41:42], v[23:24], s[24:25], -v[170:171]
	v_add_f64_e32 v[19:20], v[41:42], v[19:20]
	v_fma_f64 v[41:42], v[17:18], s[52:53], v[172:173]
	s_delay_alu instid0(VALU_DEP_1) | instskip(SKIP_1) | instid1(VALU_DEP_1)
	v_add_f64_e32 v[39:40], v[41:42], v[39:40]
	v_fma_f64 v[41:42], v[33:34], s[16:17], -v[174:175]
	v_add_f64_e32 v[19:20], v[41:42], v[19:20]
	v_fma_f64 v[41:42], v[21:22], s[36:37], v[176:177]
	s_delay_alu instid0(VALU_DEP_1) | instskip(SKIP_1) | instid1(VALU_DEP_2)
	v_add_f64_e32 v[39:40], v[41:42], v[39:40]
	v_fma_f64 v[41:42], v[25:26], s[26:27], -v[178:179]
	v_add_f64_e32 v[66:67], v[43:44], v[39:40]
	s_delay_alu instid0(VALU_DEP_2) | instskip(SKIP_4) | instid1(VALU_DEP_4)
	v_add_f64_e32 v[64:65], v[41:42], v[19:20]
	v_fma_f64 v[19:20], v[76:77], s[16:17], -v[152:153]
	v_fma_f64 v[39:40], v[78:79], s[30:31], v[68:69]
	v_fma_f64 v[41:42], v[15:16], s[22:23], -v[70:71]
	v_fma_f64 v[43:44], v[27:28], s[40:41], v[166:167]
	v_add_f64_e32 v[19:20], v[19:20], v[94:95]
	s_delay_alu instid0(VALU_DEP_4) | instskip(NEXT) | instid1(VALU_DEP_2)
	v_add_f64_e32 v[39:40], v[39:40], v[84:85]
	v_add_f64_e32 v[19:20], v[41:42], v[19:20]
	v_fma_f64 v[41:42], v[13:14], s[44:45], v[154:155]
	s_delay_alu instid0(VALU_DEP_1) | instskip(SKIP_1) | instid1(VALU_DEP_1)
	v_add_f64_e32 v[39:40], v[41:42], v[39:40]
	v_fma_f64 v[41:42], v[23:24], s[28:29], -v[156:157]
	v_add_f64_e32 v[19:20], v[41:42], v[19:20]
	v_fma_f64 v[41:42], v[17:18], s[50:51], v[158:159]
	s_delay_alu instid0(VALU_DEP_1) | instskip(SKIP_1) | instid1(VALU_DEP_1)
	v_add_f64_e32 v[39:40], v[41:42], v[39:40]
	v_fma_f64 v[41:42], v[33:34], s[26:27], -v[160:161]
	v_add_f64_e32 v[19:20], v[41:42], v[19:20]
	v_fma_f64 v[41:42], v[21:22], s[38:39], v[162:163]
	s_delay_alu instid0(VALU_DEP_1) | instskip(SKIP_1) | instid1(VALU_DEP_2)
	v_add_f64_e32 v[39:40], v[41:42], v[39:40]
	v_fma_f64 v[41:42], v[25:26], s[18:19], -v[164:165]
	v_add_f64_e32 v[70:71], v[43:44], v[39:40]
	s_delay_alu instid0(VALU_DEP_2)
	v_add_f64_e32 v[68:69], v[41:42], v[19:20]
	v_fma_f64 v[19:20], v[76:77], s[22:23], -v[132:133]
	v_fma_f64 v[39:40], v[78:79], s[34:35], v[134:135]
	v_fma_f64 v[41:42], v[15:16], s[16:17], -v[136:137]
	v_fma_f64 v[43:44], v[27:28], s[50:51], v[150:151]
	v_fma_f64 v[15:16], v[15:16], s[24:25], v[116:117]
	v_add_f64_e32 v[19:20], v[19:20], v[92:93]
	v_add_f64_e32 v[39:40], v[39:40], v[82:83]
	s_delay_alu instid0(VALU_DEP_2) | instskip(SKIP_2) | instid1(VALU_DEP_2)
	v_add_f64_e32 v[19:20], v[41:42], v[19:20]
	v_fma_f64 v[41:42], v[13:14], s[30:31], v[138:139]
	v_fma_f64 v[13:14], v[13:14], s[46:47], v[118:119]
	v_add_f64_e32 v[39:40], v[41:42], v[39:40]
	v_fma_f64 v[41:42], v[23:24], s[18:19], -v[140:141]
	v_fma_f64 v[23:24], v[23:24], s[22:23], v[120:121]
	s_delay_alu instid0(VALU_DEP_2) | instskip(SKIP_2) | instid1(VALU_DEP_2)
	v_add_f64_e32 v[19:20], v[41:42], v[19:20]
	v_fma_f64 v[41:42], v[17:18], s[42:43], v[142:143]
	v_fma_f64 v[17:18], v[17:18], s[44:45], v[122:123]
	v_add_f64_e32 v[39:40], v[41:42], v[39:40]
	v_fma_f64 v[41:42], v[33:34], s[24:25], -v[144:145]
	s_delay_alu instid0(VALU_DEP_1) | instskip(SKIP_2) | instid1(VALU_DEP_2)
	v_add_f64_e32 v[19:20], v[41:42], v[19:20]
	v_fma_f64 v[41:42], v[21:22], s[46:47], v[146:147]
	v_fma_f64 v[21:22], v[21:22], s[42:43], v[126:127]
	v_add_f64_e32 v[39:40], v[41:42], v[39:40]
	v_fma_f64 v[41:42], v[25:26], s[28:29], -v[148:149]
	s_delay_alu instid0(VALU_DEP_2) | instskip(NEXT) | instid1(VALU_DEP_2)
	v_add_f64_e32 v[74:75], v[43:44], v[39:40]
	v_add_f64_e32 v[72:73], v[41:42], v[19:20]
	v_fma_f64 v[19:20], v[76:77], s[26:27], v[112:113]
	v_fma_f64 v[39:40], v[78:79], s[48:49], v[114:115]
	s_delay_alu instid0(VALU_DEP_2) | instskip(NEXT) | instid1(VALU_DEP_2)
	v_add_f64_e32 v[19:20], v[19:20], v[102:103]
	v_add_f64_e32 v[39:40], v[39:40], v[90:91]
	s_delay_alu instid0(VALU_DEP_2) | instskip(NEXT) | instid1(VALU_DEP_2)
	v_add_f64_e32 v[15:16], v[15:16], v[19:20]
	v_add_f64_e32 v[13:14], v[13:14], v[39:40]
	v_fma_f64 v[19:20], v[33:34], s[18:19], v[124:125]
	s_delay_alu instid0(VALU_DEP_3) | instskip(NEXT) | instid1(VALU_DEP_3)
	v_add_f64_e32 v[15:16], v[23:24], v[15:16]
	v_add_f64_e32 v[13:14], v[17:18], v[13:14]
	v_fma_f64 v[17:18], v[25:26], s[16:17], v[128:129]
	v_fma_f64 v[23:24], v[27:28], s[36:37], v[130:131]
	s_delay_alu instid0(VALU_DEP_4) | instskip(NEXT) | instid1(VALU_DEP_4)
	v_add_f64_e32 v[15:16], v[19:20], v[15:16]
	v_add_f64_e32 v[19:20], v[21:22], v[13:14]
	s_delay_alu instid0(VALU_DEP_2) | instskip(NEXT) | instid1(VALU_DEP_2)
	v_add_f64_e32 v[13:14], v[17:18], v[15:16]
	v_add_f64_e32 v[15:16], v[23:24], v[19:20]
	v_mad_u32_u24 v17, 0xd0, v46, v47
	ds_store_b128 v17, v[9:12] offset:32
	ds_store_b128 v17, v[48:51] offset:48
	;; [unrolled: 1-line block ×4, first 2 shown]
	v_mul_u32_u24_e32 v9, 12, v46
	ds_store_b128 v17, v[29:32] offset:96
	ds_store_b128 v17, v[35:38] offset:112
	;; [unrolled: 1-line block ×8, first 2 shown]
	ds_store_b128 v17, v[5:8]
	v_lshlrev_b32_e32 v41, 4, v9
	global_wb scope:SCOPE_SE
	s_wait_dscnt 0x0
	s_barrier_signal -1
	s_barrier_wait -1
	global_inv scope:SCOPE_SE
	s_clause 0x4
	global_load_b128 v[5:8], v41, s[4:5]
	global_load_b128 v[9:12], v41, s[4:5] offset:176
	global_load_b128 v[13:16], v41, s[4:5] offset:16
	;; [unrolled: 1-line block ×4, first 2 shown]
	ds_load_b128 v[27:30], v109 offset:208
	ds_load_b128 v[31:34], v109 offset:2496
	ds_load_b128 v[1:4], v45
	s_wait_loadcnt_dscnt 0x402
	v_mul_f64_e32 v[17:18], v[27:28], v[7:8]
	v_mul_f64_e32 v[7:8], v[29:30], v[7:8]
	s_wait_loadcnt_dscnt 0x301
	v_mul_f64_e32 v[39:40], v[31:32], v[11:12]
	v_mul_f64_e32 v[11:12], v[33:34], v[11:12]
	s_delay_alu instid0(VALU_DEP_4) | instskip(NEXT) | instid1(VALU_DEP_4)
	v_fma_f64 v[51:52], v[29:30], v[5:6], -v[17:18]
	v_fma_f64 v[49:50], v[27:28], v[5:6], v[7:8]
	ds_load_b128 v[27:30], v109 offset:416
	ds_load_b128 v[35:38], v109 offset:624
	v_fma_f64 v[5:6], v[33:34], v[9:10], -v[39:40]
	v_fma_f64 v[7:8], v[31:32], v[9:10], v[11:12]
	ds_load_b128 v[31:34], v109 offset:2288
	s_wait_loadcnt_dscnt 0x202
	v_mul_f64_e32 v[9:10], v[27:28], v[15:16]
	v_mul_f64_e32 v[11:12], v[29:30], v[15:16]
	v_add_f64_e32 v[65:66], v[49:50], v[7:8]
	v_add_f64_e64 v[89:90], v[49:50], -v[7:8]
	v_add_f64_e32 v[49:50], v[1:2], v[49:50]
	v_fma_f64 v[15:16], v[29:30], v[13:14], -v[9:10]
	v_fma_f64 v[17:18], v[27:28], v[13:14], v[11:12]
	ds_load_b128 v[27:30], v109 offset:2080
	s_wait_loadcnt_dscnt 0x101
	v_mul_f64_e32 v[9:10], v[31:32], v[21:22]
	v_mul_f64_e32 v[11:12], v[33:34], v[21:22]
	s_wait_loadcnt 0x0
	v_mul_f64_e32 v[13:14], v[35:36], v[25:26]
	s_delay_alu instid0(VALU_DEP_3) | instskip(NEXT) | instid1(VALU_DEP_3)
	v_fma_f64 v[9:10], v[33:34], v[19:20], -v[9:10]
	v_fma_f64 v[11:12], v[31:32], v[19:20], v[11:12]
	v_mul_f64_e32 v[19:20], v[37:38], v[25:26]
	global_load_b128 v[31:34], v41, s[4:5] offset:48
	v_fma_f64 v[21:22], v[37:38], v[23:24], -v[13:14]
	v_fma_f64 v[23:24], v[35:36], v[23:24], v[19:20]
	s_clause 0x1
	global_load_b128 v[35:38], v41, s[4:5] offset:144
	global_load_b128 v[42:45], v41, s[4:5] offset:128
	s_wait_loadcnt_dscnt 0x100
	v_mul_f64_e32 v[13:14], v[27:28], v[37:38]
	v_mul_f64_e32 v[19:20], v[29:30], v[37:38]
	s_delay_alu instid0(VALU_DEP_2) | instskip(NEXT) | instid1(VALU_DEP_2)
	v_fma_f64 v[13:14], v[29:30], v[35:36], -v[13:14]
	v_fma_f64 v[19:20], v[27:28], v[35:36], v[19:20]
	ds_load_b128 v[25:28], v109 offset:832
	ds_load_b128 v[35:38], v109 offset:1040
	;; [unrolled: 1-line block ×4, first 2 shown]
	s_wait_dscnt 0x3
	v_mul_f64_e32 v[29:30], v[25:26], v[33:34]
	v_add_f64_e64 v[122:123], v[21:22], -v[13:14]
	v_add_f64_e32 v[124:125], v[21:22], v[13:14]
	s_delay_alu instid0(VALU_DEP_3) | instskip(SKIP_1) | instid1(VALU_DEP_1)
	v_fma_f64 v[29:30], v[27:28], v[31:32], -v[29:30]
	v_mul_f64_e32 v[27:28], v[27:28], v[33:34]
	v_fma_f64 v[31:32], v[25:26], v[31:32], v[27:28]
	s_wait_loadcnt_dscnt 0x1
	v_mul_f64_e32 v[25:26], v[53:54], v[44:45]
	v_mul_f64_e32 v[27:28], v[55:56], v[44:45]
	s_delay_alu instid0(VALU_DEP_2) | instskip(NEXT) | instid1(VALU_DEP_2)
	v_fma_f64 v[25:26], v[55:56], v[42:43], -v[25:26]
	v_fma_f64 v[27:28], v[53:54], v[42:43], v[27:28]
	s_clause 0x1
	global_load_b128 v[42:45], v41, s[4:5] offset:64
	global_load_b128 v[53:56], v41, s[4:5] offset:80
	v_add_f64_e64 v[126:127], v[29:30], -v[25:26]
	v_add_f64_e64 v[130:131], v[31:32], -v[27:28]
	s_wait_loadcnt 0x1
	v_mul_f64_e32 v[33:34], v[37:38], v[44:45]
	s_delay_alu instid0(VALU_DEP_1) | instskip(SKIP_1) | instid1(VALU_DEP_1)
	v_fma_f64 v[33:34], v[35:36], v[42:43], v[33:34]
	v_mul_f64_e32 v[35:36], v[35:36], v[44:45]
	v_fma_f64 v[35:36], v[37:38], v[42:43], -v[35:36]
	ds_load_b128 v[42:45], v109 offset:1248
	ds_load_b128 v[61:64], v109 offset:1456
	s_wait_loadcnt_dscnt 0x1
	v_mul_f64_e32 v[37:38], v[44:45], v[55:56]
	v_mul_f64_e32 v[39:40], v[42:43], v[55:56]
	s_delay_alu instid0(VALU_DEP_2) | instskip(NEXT) | instid1(VALU_DEP_2)
	v_fma_f64 v[37:38], v[42:43], v[53:54], v[37:38]
	v_fma_f64 v[39:40], v[44:45], v[53:54], -v[39:40]
	s_clause 0x1
	global_load_b128 v[43:46], v41, s[4:5] offset:96
	global_load_b128 v[53:56], v41, s[4:5] offset:112
	s_mov_b32 s5, 0
	global_wb scope:SCOPE_SE
	s_wait_loadcnt_dscnt 0x0
	s_barrier_signal -1
	s_barrier_wait -1
	global_inv scope:SCOPE_SE
	v_mul_f64_e32 v[41:42], v[63:64], v[45:46]
	v_mul_f64_e32 v[45:46], v[61:62], v[45:46]
	;; [unrolled: 1-line block ×3, first 2 shown]
	s_delay_alu instid0(VALU_DEP_3) | instskip(NEXT) | instid1(VALU_DEP_3)
	v_fma_f64 v[41:42], v[61:62], v[43:44], v[41:42]
	v_fma_f64 v[43:44], v[63:64], v[43:44], -v[45:46]
	v_mul_f64_e32 v[45:46], v[59:60], v[55:56]
	s_delay_alu instid0(VALU_DEP_4) | instskip(NEXT) | instid1(VALU_DEP_4)
	v_fma_f64 v[47:48], v[59:60], v[53:54], -v[47:48]
	v_add_f64_e32 v[148:149], v[37:38], v[41:42]
	v_add_f64_e64 v[154:155], v[37:38], -v[41:42]
	s_delay_alu instid0(VALU_DEP_4) | instskip(SKIP_1) | instid1(VALU_DEP_2)
	v_fma_f64 v[45:46], v[57:58], v[53:54], v[45:46]
	v_add_f64_e64 v[53:54], v[51:52], -v[5:6]
	v_add_f64_e32 v[136:137], v[33:34], v[45:46]
	s_delay_alu instid0(VALU_DEP_2)
	v_mul_f64_e32 v[55:56], s[54:55], v[53:54]
	v_mul_f64_e32 v[57:58], s[38:39], v[53:54]
	;; [unrolled: 1-line block ×6, first 2 shown]
	v_add_f64_e64 v[142:143], v[33:34], -v[45:46]
	v_fma_f64 v[67:68], v[65:66], s[28:29], v[55:56]
	v_fma_f64 v[69:70], v[65:66], s[28:29], -v[55:56]
	v_fma_f64 v[71:72], v[65:66], s[26:27], v[57:58]
	v_fma_f64 v[57:58], v[65:66], s[26:27], -v[57:58]
	;; [unrolled: 2-line block ×6, first 2 shown]
	v_add_f64_e32 v[53:54], v[51:52], v[5:6]
	v_add_f64_e32 v[51:52], v[3:4], v[51:52]
	;; [unrolled: 1-line block ×7, first 2 shown]
	v_mul_f64_e32 v[59:60], s[26:27], v[53:54]
	v_mul_f64_e32 v[55:56], s[28:29], v[53:54]
	;; [unrolled: 1-line block ×6, first 2 shown]
	v_fma_f64 v[97:98], v[89:90], s[38:39], v[59:60]
	v_fma_f64 v[91:92], v[89:90], s[50:51], v[55:56]
	;; [unrolled: 1-line block ×12, first 2 shown]
	v_add_f64_e32 v[59:60], v[1:2], v[57:58]
	v_add_f64_e32 v[53:54], v[1:2], v[67:68]
	;; [unrolled: 1-line block ×4, first 2 shown]
	v_mul_f64_e32 v[75:76], s[52:53], v[122:123]
	v_add_f64_e32 v[57:58], v[3:4], v[97:98]
	v_add_f64_e64 v[97:98], v[15:16], -v[9:10]
	v_add_f64_e32 v[55:56], v[3:4], v[91:92]
	v_add_f64_e32 v[91:92], v[3:4], v[93:94]
	;; [unrolled: 1-line block ×16, first 2 shown]
	v_mul_f64_e32 v[3:4], s[38:39], v[97:98]
	s_delay_alu instid0(VALU_DEP_1) | instskip(NEXT) | instid1(VALU_DEP_1)
	v_fma_f64 v[65:66], v[1:2], s[26:27], -v[3:4]
	v_add_f64_e32 v[83:84], v[65:66], v[67:68]
	v_add_f64_e64 v[65:66], v[17:18], -v[11:12]
	v_mul_f64_e32 v[67:68], s[26:27], v[103:104]
	s_delay_alu instid0(VALU_DEP_1) | instskip(NEXT) | instid1(VALU_DEP_1)
	v_fma_f64 v[73:74], v[65:66], s[38:39], v[67:68]
	v_add_f64_e32 v[89:90], v[73:74], v[91:92]
	v_add_f64_e32 v[73:74], v[23:24], v[19:20]
	s_delay_alu instid0(VALU_DEP_1) | instskip(NEXT) | instid1(VALU_DEP_1)
	v_fma_f64 v[87:88], v[73:74], s[24:25], -v[75:76]
	v_add_f64_e32 v[110:111], v[87:88], v[83:84]
	v_add_f64_e64 v[83:84], v[23:24], -v[19:20]
	v_mul_f64_e32 v[87:88], s[24:25], v[124:125]
	s_delay_alu instid0(VALU_DEP_1) | instskip(NEXT) | instid1(VALU_DEP_1)
	v_fma_f64 v[91:92], v[83:84], s[52:53], v[87:88]
	v_add_f64_e32 v[112:113], v[91:92], v[89:90]
	v_add_f64_e32 v[89:90], v[31:32], v[27:28]
	v_mul_f64_e32 v[91:92], s[34:35], v[126:127]
	s_delay_alu instid0(VALU_DEP_1) | instskip(NEXT) | instid1(VALU_DEP_1)
	v_fma_f64 v[128:129], v[89:90], s[22:23], -v[91:92]
	v_add_f64_e32 v[110:111], v[128:129], v[110:111]
	v_add_f64_e32 v[128:129], v[29:30], v[25:26]
	s_delay_alu instid0(VALU_DEP_1) | instskip(NEXT) | instid1(VALU_DEP_1)
	v_mul_f64_e32 v[132:133], s[22:23], v[128:129]
	v_fma_f64 v[134:135], v[130:131], s[34:35], v[132:133]
	s_delay_alu instid0(VALU_DEP_1) | instskip(SKIP_1) | instid1(VALU_DEP_1)
	v_add_f64_e32 v[112:113], v[134:135], v[112:113]
	v_add_f64_e64 v[134:135], v[35:36], -v[47:48]
	v_mul_f64_e32 v[138:139], s[40:41], v[134:135]
	s_delay_alu instid0(VALU_DEP_1) | instskip(NEXT) | instid1(VALU_DEP_1)
	v_fma_f64 v[140:141], v[136:137], s[18:19], -v[138:139]
	v_add_f64_e32 v[110:111], v[140:141], v[110:111]
	v_add_f64_e32 v[140:141], v[35:36], v[47:48]
	s_delay_alu instid0(VALU_DEP_1) | instskip(NEXT) | instid1(VALU_DEP_1)
	v_mul_f64_e32 v[144:145], s[18:19], v[140:141]
	v_fma_f64 v[146:147], v[142:143], s[40:41], v[144:145]
	s_delay_alu instid0(VALU_DEP_1) | instskip(SKIP_1) | instid1(VALU_DEP_1)
	v_add_f64_e32 v[112:113], v[146:147], v[112:113]
	v_add_f64_e64 v[146:147], v[39:40], -v[43:44]
	v_mul_f64_e32 v[150:151], s[30:31], v[146:147]
	v_mul_f64_e32 v[216:217], s[48:49], v[146:147]
	;; [unrolled: 1-line block ×3, first 2 shown]
	s_delay_alu instid0(VALU_DEP_3) | instskip(NEXT) | instid1(VALU_DEP_1)
	v_fma_f64 v[152:153], v[148:149], s[16:17], -v[150:151]
	v_add_f64_e32 v[110:111], v[152:153], v[110:111]
	v_add_f64_e32 v[152:153], v[39:40], v[43:44]
	s_delay_alu instid0(VALU_DEP_1) | instskip(SKIP_2) | instid1(VALU_DEP_3)
	v_mul_f64_e32 v[156:157], s[16:17], v[152:153]
	v_mul_f64_e32 v[218:219], s[26:27], v[152:153]
	;; [unrolled: 1-line block ×3, first 2 shown]
	v_fma_f64 v[158:159], v[154:155], s[30:31], v[156:157]
	s_delay_alu instid0(VALU_DEP_1) | instskip(SKIP_1) | instid1(VALU_DEP_1)
	v_add_f64_e32 v[112:113], v[158:159], v[112:113]
	v_mul_f64_e32 v[158:159], s[34:35], v[97:98]
	v_fma_f64 v[160:161], v[1:2], s[22:23], v[158:159]
	s_delay_alu instid0(VALU_DEP_1) | instskip(SKIP_1) | instid1(VALU_DEP_1)
	v_add_f64_e32 v[114:115], v[160:161], v[114:115]
	v_mul_f64_e32 v[160:161], s[22:23], v[103:104]
	;; [unrolled: 4-line block ×18, first 2 shown]
	v_fma_f64 v[194:195], v[142:143], s[48:49], v[192:193]
	s_delay_alu instid0(VALU_DEP_1) | instskip(SKIP_2) | instid1(VALU_DEP_2)
	v_add_f64_e32 v[120:121], v[194:195], v[120:121]
	v_mul_f64_e32 v[194:195], s[40:41], v[146:147]
	v_mul_f64_e32 v[146:147], s[46:47], v[146:147]
	v_fma_f64 v[196:197], v[148:149], s[18:19], v[194:195]
	s_delay_alu instid0(VALU_DEP_1) | instskip(SKIP_2) | instid1(VALU_DEP_2)
	v_add_f64_e32 v[118:119], v[196:197], v[118:119]
	v_mul_f64_e32 v[196:197], s[18:19], v[152:153]
	v_mul_f64_e32 v[152:153], s[24:25], v[152:153]
	v_fma_f64 v[198:199], v[154:155], s[42:43], v[196:197]
	s_delay_alu instid0(VALU_DEP_1) | instskip(SKIP_4) | instid1(VALU_DEP_1)
	v_add_f64_e32 v[120:121], v[198:199], v[120:121]
	v_mul_f64_e32 v[198:199], s[42:43], v[97:98]
	ds_store_b128 v109, v[114:117] offset:416
	ds_store_b128 v109, v[118:121] offset:624
	v_fma_f64 v[200:201], v[1:2], s[18:19], v[198:199]
	v_add_f64_e32 v[107:108], v[200:201], v[107:108]
	v_mul_f64_e32 v[200:201], s[18:19], v[103:104]
	s_delay_alu instid0(VALU_DEP_1) | instskip(NEXT) | instid1(VALU_DEP_1)
	v_fma_f64 v[202:203], v[65:66], s[40:41], v[200:201]
	v_add_f64_e32 v[105:106], v[202:203], v[105:106]
	v_mul_f64_e32 v[202:203], s[50:51], v[122:123]
	s_delay_alu instid0(VALU_DEP_1) | instskip(NEXT) | instid1(VALU_DEP_1)
	v_fma_f64 v[204:205], v[73:74], s[28:29], v[202:203]
	v_add_f64_e32 v[107:108], v[204:205], v[107:108]
	v_mul_f64_e32 v[204:205], s[28:29], v[124:125]
	s_delay_alu instid0(VALU_DEP_1) | instskip(NEXT) | instid1(VALU_DEP_1)
	v_fma_f64 v[206:207], v[83:84], s[54:55], v[204:205]
	v_add_f64_e32 v[105:106], v[206:207], v[105:106]
	v_mul_f64_e32 v[206:207], s[52:53], v[126:127]
	s_delay_alu instid0(VALU_DEP_1) | instskip(NEXT) | instid1(VALU_DEP_1)
	v_fma_f64 v[208:209], v[89:90], s[24:25], v[206:207]
	v_add_f64_e32 v[107:108], v[208:209], v[107:108]
	v_mul_f64_e32 v[208:209], s[24:25], v[128:129]
	s_delay_alu instid0(VALU_DEP_1) | instskip(NEXT) | instid1(VALU_DEP_1)
	v_fma_f64 v[210:211], v[130:131], s[46:47], v[208:209]
	v_add_f64_e32 v[105:106], v[210:211], v[105:106]
	v_mul_f64_e32 v[210:211], s[36:37], v[134:135]
	s_delay_alu instid0(VALU_DEP_1) | instskip(NEXT) | instid1(VALU_DEP_1)
	v_fma_f64 v[212:213], v[136:137], s[16:17], v[210:211]
	v_add_f64_e32 v[107:108], v[212:213], v[107:108]
	v_mul_f64_e32 v[212:213], s[16:17], v[140:141]
	s_delay_alu instid0(VALU_DEP_1) | instskip(NEXT) | instid1(VALU_DEP_1)
	v_fma_f64 v[214:215], v[142:143], s[30:31], v[212:213]
	v_add_f64_e32 v[214:215], v[214:215], v[105:106]
	v_fma_f64 v[105:106], v[148:149], s[26:27], v[216:217]
	s_delay_alu instid0(VALU_DEP_1) | instskip(SKIP_1) | instid1(VALU_DEP_1)
	v_add_f64_e32 v[105:106], v[105:106], v[107:108]
	v_fma_f64 v[107:108], v[154:155], s[38:39], v[218:219]
	v_add_f64_e32 v[107:108], v[107:108], v[214:215]
	v_mul_f64_e32 v[214:215], s[46:47], v[97:98]
	v_mul_f64_e32 v[97:98], s[50:51], v[97:98]
	ds_store_b128 v109, v[105:108] offset:832
	v_fma_f64 v[220:221], v[1:2], s[24:25], v[214:215]
	s_delay_alu instid0(VALU_DEP_1) | instskip(SKIP_2) | instid1(VALU_DEP_2)
	v_add_f64_e32 v[101:102], v[220:221], v[101:102]
	v_mul_f64_e32 v[220:221], s[24:25], v[103:104]
	v_mul_f64_e32 v[103:104], s[28:29], v[103:104]
	v_fma_f64 v[222:223], v[65:66], s[52:53], v[220:221]
	s_delay_alu instid0(VALU_DEP_1) | instskip(SKIP_2) | instid1(VALU_DEP_2)
	v_add_f64_e32 v[99:100], v[222:223], v[99:100]
	v_mul_f64_e32 v[222:223], s[38:39], v[122:123]
	v_mul_f64_e32 v[122:123], s[40:41], v[122:123]
	v_fma_f64 v[224:225], v[73:74], s[26:27], v[222:223]
	s_delay_alu instid0(VALU_DEP_1) | instskip(SKIP_2) | instid1(VALU_DEP_2)
	v_add_f64_e32 v[101:102], v[224:225], v[101:102]
	v_mul_f64_e32 v[224:225], s[26:27], v[124:125]
	v_mul_f64_e32 v[124:125], s[18:19], v[124:125]
	v_fma_f64 v[226:227], v[83:84], s[48:49], v[224:225]
	s_delay_alu instid0(VALU_DEP_1) | instskip(SKIP_2) | instid1(VALU_DEP_2)
	v_add_f64_e32 v[99:100], v[226:227], v[99:100]
	v_mul_f64_e32 v[226:227], s[36:37], v[126:127]
	v_mul_f64_e32 v[126:127], s[48:49], v[126:127]
	v_fma_f64 v[228:229], v[89:90], s[16:17], v[226:227]
	s_delay_alu instid0(VALU_DEP_1) | instskip(SKIP_2) | instid1(VALU_DEP_2)
	v_add_f64_e32 v[101:102], v[228:229], v[101:102]
	v_mul_f64_e32 v[228:229], s[16:17], v[128:129]
	v_mul_f64_e32 v[128:129], s[26:27], v[128:129]
	v_fma_f64 v[230:231], v[130:131], s[30:31], v[228:229]
	s_delay_alu instid0(VALU_DEP_1) | instskip(SKIP_2) | instid1(VALU_DEP_2)
	v_add_f64_e32 v[99:100], v[230:231], v[99:100]
	v_mul_f64_e32 v[230:231], s[50:51], v[134:135]
	v_mul_f64_e32 v[134:135], s[34:35], v[134:135]
	v_fma_f64 v[232:233], v[136:137], s[28:29], v[230:231]
	s_delay_alu instid0(VALU_DEP_1) | instskip(SKIP_2) | instid1(VALU_DEP_2)
	v_add_f64_e32 v[101:102], v[232:233], v[101:102]
	v_mul_f64_e32 v[232:233], s[28:29], v[140:141]
	v_mul_f64_e32 v[140:141], s[22:23], v[140:141]
	v_fma_f64 v[234:235], v[142:143], s[54:55], v[232:233]
	s_delay_alu instid0(VALU_DEP_1) | instskip(SKIP_1) | instid1(VALU_DEP_1)
	v_add_f64_e32 v[234:235], v[234:235], v[99:100]
	v_fma_f64 v[99:100], v[148:149], s[22:23], v[236:237]
	v_add_f64_e32 v[99:100], v[99:100], v[101:102]
	v_fma_f64 v[101:102], v[154:155], s[44:45], v[238:239]
	s_delay_alu instid0(VALU_DEP_1) | instskip(SKIP_2) | instid1(VALU_DEP_2)
	v_add_f64_e32 v[101:102], v[101:102], v[234:235]
	v_fma_f64 v[234:235], v[1:2], s[28:29], v[97:98]
	v_fma_f64 v[97:98], v[1:2], s[28:29], -v[97:98]
	v_add_f64_e32 v[95:96], v[234:235], v[95:96]
	s_delay_alu instid0(VALU_DEP_2) | instskip(SKIP_3) | instid1(VALU_DEP_3)
	v_add_f64_e32 v[85:86], v[97:98], v[85:86]
	v_fma_f64 v[97:98], v[65:66], s[50:51], v[103:104]
	v_fma_f64 v[234:235], v[65:66], s[54:55], v[103:104]
	;; [unrolled: 1-line block ×3, first 2 shown]
	v_add_f64_e32 v[81:82], v[97:98], v[81:82]
	v_fma_f64 v[97:98], v[73:74], s[18:19], -v[122:123]
	s_delay_alu instid0(VALU_DEP_4) | instskip(SKIP_1) | instid1(VALU_DEP_3)
	v_add_f64_e32 v[93:94], v[234:235], v[93:94]
	v_fma_f64 v[234:235], v[73:74], s[18:19], v[122:123]
	v_add_f64_e32 v[85:86], v[97:98], v[85:86]
	v_fma_f64 v[97:98], v[83:84], s[40:41], v[124:125]
	s_delay_alu instid0(VALU_DEP_3) | instskip(SKIP_1) | instid1(VALU_DEP_3)
	v_add_f64_e32 v[95:96], v[234:235], v[95:96]
	v_fma_f64 v[234:235], v[83:84], s[42:43], v[124:125]
	v_add_f64_e32 v[81:82], v[97:98], v[81:82]
	v_fma_f64 v[97:98], v[89:90], s[26:27], -v[126:127]
	s_delay_alu instid0(VALU_DEP_3) | instskip(SKIP_1) | instid1(VALU_DEP_3)
	v_add_f64_e32 v[93:94], v[234:235], v[93:94]
	v_fma_f64 v[234:235], v[89:90], s[26:27], v[126:127]
	v_add_f64_e32 v[85:86], v[97:98], v[85:86]
	v_fma_f64 v[97:98], v[130:131], s[48:49], v[128:129]
	s_delay_alu instid0(VALU_DEP_3) | instskip(SKIP_1) | instid1(VALU_DEP_3)
	v_add_f64_e32 v[95:96], v[234:235], v[95:96]
	v_fma_f64 v[234:235], v[130:131], s[38:39], v[128:129]
	v_add_f64_e32 v[81:82], v[97:98], v[81:82]
	v_fma_f64 v[97:98], v[136:137], s[22:23], -v[134:135]
	s_delay_alu instid0(VALU_DEP_3) | instskip(SKIP_1) | instid1(VALU_DEP_3)
	v_add_f64_e32 v[93:94], v[234:235], v[93:94]
	v_fma_f64 v[234:235], v[136:137], s[22:23], v[134:135]
	v_add_f64_e32 v[85:86], v[97:98], v[85:86]
	v_fma_f64 v[97:98], v[142:143], s[34:35], v[140:141]
	s_delay_alu instid0(VALU_DEP_3) | instskip(SKIP_1) | instid1(VALU_DEP_3)
	v_add_f64_e32 v[95:96], v[234:235], v[95:96]
	v_fma_f64 v[234:235], v[142:143], s[44:45], v[140:141]
	v_add_f64_e32 v[81:82], v[97:98], v[81:82]
	v_fma_f64 v[97:98], v[148:149], s[24:25], -v[146:147]
	s_delay_alu instid0(VALU_DEP_3) | instskip(SKIP_1) | instid1(VALU_DEP_4)
	v_add_f64_e32 v[234:235], v[234:235], v[93:94]
	v_fma_f64 v[93:94], v[148:149], s[24:25], v[146:147]
	v_add_f64_e32 v[124:125], v[103:104], v[81:82]
	v_fma_f64 v[81:82], v[1:2], s[24:25], -v[214:215]
	v_add_f64_e32 v[122:123], v[97:98], v[85:86]
	v_fma_f64 v[85:86], v[154:155], s[34:35], v[238:239]
	v_add_f64_e32 v[93:94], v[93:94], v[95:96]
	v_fma_f64 v[95:96], v[154:155], s[52:53], v[152:153]
	;; [unrolled: 2-line block ×3, first 2 shown]
	s_delay_alu instid0(VALU_DEP_3) | instskip(NEXT) | instid1(VALU_DEP_2)
	v_add_f64_e32 v[95:96], v[95:96], v[234:235]
	v_add_f64_e32 v[77:78], v[81:82], v[77:78]
	v_fma_f64 v[81:82], v[73:74], s[26:27], -v[222:223]
	s_delay_alu instid0(VALU_DEP_1) | instskip(SKIP_1) | instid1(VALU_DEP_1)
	v_add_f64_e32 v[79:80], v[81:82], v[79:80]
	v_fma_f64 v[81:82], v[83:84], s[38:39], v[224:225]
	v_add_f64_e32 v[77:78], v[81:82], v[77:78]
	v_fma_f64 v[81:82], v[89:90], s[16:17], -v[226:227]
	s_delay_alu instid0(VALU_DEP_1) | instskip(SKIP_1) | instid1(VALU_DEP_1)
	v_add_f64_e32 v[79:80], v[81:82], v[79:80]
	v_fma_f64 v[81:82], v[130:131], s[36:37], v[228:229]
	;; [unrolled: 5-line block ×3, first 2 shown]
	v_add_f64_e32 v[81:82], v[81:82], v[77:78]
	v_fma_f64 v[77:78], v[148:149], s[22:23], -v[236:237]
	s_delay_alu instid0(VALU_DEP_1) | instskip(NEXT) | instid1(VALU_DEP_3)
	v_add_f64_e32 v[77:78], v[77:78], v[79:80]
	v_add_f64_e32 v[79:80], v[85:86], v[81:82]
	v_fma_f64 v[81:82], v[1:2], s[18:19], -v[198:199]
	v_fma_f64 v[85:86], v[154:155], s[48:49], v[218:219]
	s_delay_alu instid0(VALU_DEP_2) | instskip(SKIP_1) | instid1(VALU_DEP_1)
	v_add_f64_e32 v[71:72], v[81:82], v[71:72]
	v_fma_f64 v[81:82], v[65:66], s[42:43], v[200:201]
	v_add_f64_e32 v[69:70], v[81:82], v[69:70]
	v_fma_f64 v[81:82], v[73:74], s[28:29], -v[202:203]
	s_delay_alu instid0(VALU_DEP_1) | instskip(SKIP_1) | instid1(VALU_DEP_1)
	v_add_f64_e32 v[71:72], v[81:82], v[71:72]
	v_fma_f64 v[81:82], v[83:84], s[50:51], v[204:205]
	v_add_f64_e32 v[69:70], v[81:82], v[69:70]
	v_fma_f64 v[81:82], v[89:90], s[24:25], -v[206:207]
	s_delay_alu instid0(VALU_DEP_1) | instskip(SKIP_1) | instid1(VALU_DEP_1)
	;; [unrolled: 5-line block ×3, first 2 shown]
	v_add_f64_e32 v[71:72], v[81:82], v[71:72]
	v_fma_f64 v[81:82], v[142:143], s[36:37], v[212:213]
	v_add_f64_e32 v[81:82], v[81:82], v[69:70]
	v_fma_f64 v[69:70], v[148:149], s[26:27], -v[216:217]
	s_delay_alu instid0(VALU_DEP_1) | instskip(NEXT) | instid1(VALU_DEP_3)
	v_add_f64_e32 v[69:70], v[69:70], v[71:72]
	v_add_f64_e32 v[71:72], v[85:86], v[81:82]
	v_fma_f64 v[81:82], v[1:2], s[16:17], -v[178:179]
	v_fma_f64 v[85:86], v[154:155], s[40:41], v[196:197]
	s_delay_alu instid0(VALU_DEP_2) | instskip(SKIP_1) | instid1(VALU_DEP_1)
	v_add_f64_e32 v[63:64], v[81:82], v[63:64]
	v_fma_f64 v[81:82], v[65:66], s[30:31], v[180:181]
	v_add_f64_e32 v[61:62], v[81:82], v[61:62]
	v_fma_f64 v[81:82], v[73:74], s[22:23], -v[182:183]
	s_delay_alu instid0(VALU_DEP_1) | instskip(SKIP_1) | instid1(VALU_DEP_1)
	v_add_f64_e32 v[63:64], v[81:82], v[63:64]
	v_fma_f64 v[81:82], v[83:84], s[44:45], v[184:185]
	v_add_f64_e32 v[61:62], v[81:82], v[61:62]
	v_fma_f64 v[81:82], v[89:90], s[28:29], -v[186:187]
	s_delay_alu instid0(VALU_DEP_1) | instskip(SKIP_1) | instid1(VALU_DEP_1)
	;; [unrolled: 5-line block ×3, first 2 shown]
	v_add_f64_e32 v[63:64], v[81:82], v[63:64]
	v_fma_f64 v[81:82], v[142:143], s[38:39], v[192:193]
	v_add_f64_e32 v[81:82], v[81:82], v[61:62]
	v_fma_f64 v[61:62], v[148:149], s[18:19], -v[194:195]
	s_delay_alu instid0(VALU_DEP_1) | instskip(NEXT) | instid1(VALU_DEP_3)
	v_add_f64_e32 v[61:62], v[61:62], v[63:64]
	v_add_f64_e32 v[63:64], v[85:86], v[81:82]
	v_fma_f64 v[81:82], v[1:2], s[22:23], -v[158:159]
	v_fma_f64 v[1:2], v[1:2], s[26:27], v[3:4]
	v_fma_f64 v[3:4], v[65:66], s[48:49], v[67:68]
	;; [unrolled: 1-line block ×4, first 2 shown]
	v_add_f64_e32 v[59:60], v[81:82], v[59:60]
	v_fma_f64 v[81:82], v[65:66], s[34:35], v[160:161]
	v_fma_f64 v[65:66], v[73:74], s[24:25], v[75:76]
	v_add_f64_e32 v[1:2], v[1:2], v[53:54]
	v_add_f64_e32 v[3:4], v[3:4], v[55:56]
	v_fma_f64 v[53:54], v[89:90], s[22:23], v[91:92]
	v_fma_f64 v[55:56], v[130:131], s[44:45], v[132:133]
	v_add_f64_e32 v[57:58], v[81:82], v[57:58]
	v_fma_f64 v[81:82], v[73:74], s[16:17], -v[162:163]
	v_add_f64_e32 v[1:2], v[65:66], v[1:2]
	v_add_f64_e32 v[3:4], v[67:68], v[3:4]
	v_fma_f64 v[65:66], v[136:137], s[18:19], v[138:139]
	v_fma_f64 v[67:68], v[142:143], s[42:43], v[144:145]
	v_add_f64_e32 v[59:60], v[81:82], v[59:60]
	v_add_f64_e32 v[1:2], v[53:54], v[1:2]
	;; [unrolled: 1-line block ×3, first 2 shown]
	v_fma_f64 v[53:54], v[148:149], s[16:17], v[150:151]
	v_fma_f64 v[55:56], v[154:155], s[36:37], v[156:157]
	;; [unrolled: 1-line block ×3, first 2 shown]
	v_add_f64_e32 v[1:2], v[65:66], v[1:2]
	v_add_f64_e32 v[3:4], v[67:68], v[3:4]
	s_delay_alu instid0(VALU_DEP_3) | instskip(SKIP_1) | instid1(VALU_DEP_4)
	v_add_f64_e32 v[57:58], v[81:82], v[57:58]
	v_fma_f64 v[81:82], v[89:90], s[18:19], -v[166:167]
	v_add_f64_e32 v[53:54], v[53:54], v[1:2]
	v_add_f64_e32 v[1:2], v[49:50], v[17:18]
	v_add_f64_e32 v[55:56], v[55:56], v[3:4]
	v_add_f64_e32 v[3:4], v[51:52], v[15:16]
	v_add_f64_e32 v[59:60], v[81:82], v[59:60]
	v_fma_f64 v[81:82], v[130:131], s[42:43], v[168:169]
	v_add_f64_e32 v[1:2], v[1:2], v[23:24]
	s_delay_alu instid0(VALU_DEP_4) | instskip(NEXT) | instid1(VALU_DEP_3)
	v_add_f64_e32 v[3:4], v[3:4], v[21:22]
	v_add_f64_e32 v[57:58], v[81:82], v[57:58]
	v_fma_f64 v[81:82], v[136:137], s[24:25], -v[170:171]
	s_delay_alu instid0(VALU_DEP_4) | instskip(NEXT) | instid1(VALU_DEP_4)
	v_add_f64_e32 v[1:2], v[1:2], v[31:32]
	v_add_f64_e32 v[3:4], v[3:4], v[29:30]
	s_delay_alu instid0(VALU_DEP_3) | instskip(SKIP_1) | instid1(VALU_DEP_4)
	v_add_f64_e32 v[59:60], v[81:82], v[59:60]
	v_fma_f64 v[81:82], v[142:143], s[46:47], v[172:173]
	v_add_f64_e32 v[1:2], v[1:2], v[33:34]
	s_delay_alu instid0(VALU_DEP_4) | instskip(NEXT) | instid1(VALU_DEP_3)
	v_add_f64_e32 v[3:4], v[3:4], v[35:36]
	v_add_f64_e32 v[81:82], v[81:82], v[57:58]
	v_fma_f64 v[57:58], v[148:149], s[28:29], -v[174:175]
	s_delay_alu instid0(VALU_DEP_4) | instskip(NEXT) | instid1(VALU_DEP_4)
	v_add_f64_e32 v[1:2], v[1:2], v[37:38]
	v_add_f64_e32 v[3:4], v[3:4], v[39:40]
	s_delay_alu instid0(VALU_DEP_3) | instskip(SKIP_1) | instid1(VALU_DEP_4)
	v_add_f64_e32 v[57:58], v[57:58], v[59:60]
	v_add_f64_e32 v[59:60], v[85:86], v[81:82]
	;; [unrolled: 1-line block ×3, first 2 shown]
	s_delay_alu instid0(VALU_DEP_4) | instskip(NEXT) | instid1(VALU_DEP_2)
	v_add_f64_e32 v[3:4], v[3:4], v[43:44]
	v_add_f64_e32 v[1:2], v[1:2], v[45:46]
	s_delay_alu instid0(VALU_DEP_2) | instskip(NEXT) | instid1(VALU_DEP_2)
	v_add_f64_e32 v[3:4], v[3:4], v[47:48]
	v_add_f64_e32 v[1:2], v[1:2], v[27:28]
	s_delay_alu instid0(VALU_DEP_2) | instskip(NEXT) | instid1(VALU_DEP_2)
	;; [unrolled: 3-line block ×4, first 2 shown]
	v_add_f64_e32 v[9:10], v[3:4], v[9:10]
	v_add_f64_e32 v[2:3], v[1:2], v[7:8]
	v_mul_hi_u32 v1, 0x15555556, v0
	s_delay_alu instid0(VALU_DEP_3)
	v_add_f64_e32 v[4:5], v[9:10], v[5:6]
	ds_store_b128 v109, v[99:102] offset:1040
	ds_store_b128 v109, v[93:96] offset:1248
	;; [unrolled: 1-line block ×9, first 2 shown]
	ds_store_b128 v109, v[2:5]
	v_mul_u32_u24_e32 v6, 12, v1
	global_wb scope:SCOPE_SE
	s_wait_dscnt 0x0
	s_barrier_signal -1
	s_barrier_wait -1
	global_inv scope:SCOPE_SE
	v_sub_nc_u32_e32 v0, v0, v6
	s_delay_alu instid0(VALU_DEP_1) | instskip(NEXT) | instid1(VALU_DEP_1)
	v_add_nc_u32_e32 v6, s14, v0
	v_cmp_gt_u32_e32 vcc_lo, s12, v6
	s_or_b32 s4, s7, vcc_lo
	s_delay_alu instid0(SALU_CYCLE_1)
	s_and_saveexec_b32 s7, s4
	s_cbranch_execz .LBB0_8
; %bb.7:
	s_load_b64 s[0:1], s[0:1], 0x60
	v_mad_co_u64_u32 v[2:3], null, s8, v0, 0
	s_mov_b32 s15, s5
	s_mul_i32 s4, s13, s10
	v_mul_lo_u32 v20, v1, s6
	s_mul_i32 s10, s6, 13
	s_wait_alu 0xfffe
	s_mul_u64 s[6:7], s[8:9], s[14:15]
	s_mul_u64 s[2:3], s[20:21], s[2:3]
	v_mad_co_u64_u32 v[3:4], null, s9, v0, v[3:4]
	s_wait_alu 0xfffe
	s_lshl_b64 s[6:7], s[6:7], 4
	v_mov_b32_e32 v21, 0
	s_lshl_b64 s[4:5], s[4:5], 4
	s_lshl_b64 s[2:3], s[2:3], 4
	v_mul_i32_i24_e32 v0, 0xa90, v0
	v_lshlrev_b32_e32 v1, 4, v1
	v_lshlrev_b64_e32 v[10:11], 4, v[2:3]
	v_lshlrev_b64_e32 v[8:9], 4, v[20:21]
	v_add_nc_u32_e32 v20, s10, v20
	s_wait_kmcnt 0x0
	s_wait_alu 0xfffe
	s_add_nc_u64 s[0:1], s[0:1], s[6:7]
	v_add3_u32 v28, 0, v0, v1
	s_add_nc_u64 s[0:1], s[0:1], s[4:5]
	ds_load_b128 v[0:3], v28
	ds_load_b128 v[4:7], v28 offset:208
	s_add_nc_u64 s[0:1], s[0:1], s[2:3]
	v_lshlrev_b64_e32 v[16:17], 4, v[20:21]
	v_add_co_u32 v30, vcc_lo, s0, v10
	s_wait_alu 0xfffd
	v_add_co_ci_u32_e32 v31, vcc_lo, s1, v11, vcc_lo
	v_add_nc_u32_e32 v20, s10, v20
	s_delay_alu instid0(VALU_DEP_3) | instskip(SKIP_1) | instid1(VALU_DEP_3)
	v_add_co_u32 v18, vcc_lo, v30, v8
	s_wait_alu 0xfffd
	v_add_co_ci_u32_e32 v19, vcc_lo, v31, v9, vcc_lo
	ds_load_b128 v[8:11], v28 offset:416
	ds_load_b128 v[12:15], v28 offset:624
	v_lshlrev_b64_e32 v[22:23], 4, v[20:21]
	v_add_nc_u32_e32 v20, s10, v20
	v_add_co_u32 v16, vcc_lo, v30, v16
	s_wait_alu 0xfffd
	v_add_co_ci_u32_e32 v17, vcc_lo, v31, v17, vcc_lo
	s_delay_alu instid0(VALU_DEP_3) | instskip(SKIP_4) | instid1(VALU_DEP_4)
	v_lshlrev_b64_e32 v[24:25], 4, v[20:21]
	v_add_nc_u32_e32 v20, s10, v20
	v_add_co_u32 v22, vcc_lo, v30, v22
	s_wait_alu 0xfffd
	v_add_co_ci_u32_e32 v23, vcc_lo, v31, v23, vcc_lo
	v_add_co_u32 v24, vcc_lo, v30, v24
	v_lshlrev_b64_e32 v[26:27], 4, v[20:21]
	v_add_nc_u32_e32 v20, s10, v20
	s_wait_alu 0xfffd
	v_add_co_ci_u32_e32 v25, vcc_lo, v31, v25, vcc_lo
	s_wait_dscnt 0x3
	global_store_b128 v[18:19], v[0:3], off
	s_wait_dscnt 0x2
	global_store_b128 v[16:17], v[4:7], off
	;; [unrolled: 2-line block ×4, first 2 shown]
	v_lshlrev_b64_e32 v[16:17], 4, v[20:21]
	v_add_nc_u32_e32 v20, s10, v20
	ds_load_b128 v[0:3], v28 offset:832
	ds_load_b128 v[4:7], v28 offset:1040
	;; [unrolled: 1-line block ×4, first 2 shown]
	v_add_co_u32 v18, vcc_lo, v30, v26
	v_lshlrev_b64_e32 v[22:23], 4, v[20:21]
	v_add_nc_u32_e32 v20, s10, v20
	s_wait_alu 0xfffd
	v_add_co_ci_u32_e32 v19, vcc_lo, v31, v27, vcc_lo
	v_add_co_u32 v16, vcc_lo, v30, v16
	s_delay_alu instid0(VALU_DEP_3)
	v_lshlrev_b64_e32 v[24:25], 4, v[20:21]
	v_add_nc_u32_e32 v20, s10, v20
	s_wait_alu 0xfffd
	v_add_co_ci_u32_e32 v17, vcc_lo, v31, v17, vcc_lo
	v_add_co_u32 v22, vcc_lo, v30, v22
	s_wait_alu 0xfffd
	v_add_co_ci_u32_e32 v23, vcc_lo, v31, v23, vcc_lo
	v_lshlrev_b64_e32 v[26:27], 4, v[20:21]
	v_add_nc_u32_e32 v20, s10, v20
	v_add_co_u32 v24, vcc_lo, v30, v24
	s_wait_alu 0xfffd
	v_add_co_ci_u32_e32 v25, vcc_lo, v31, v25, vcc_lo
	s_wait_dscnt 0x3
	global_store_b128 v[18:19], v[0:3], off
	s_wait_dscnt 0x2
	global_store_b128 v[16:17], v[4:7], off
	;; [unrolled: 2-line block ×4, first 2 shown]
	v_lshlrev_b64_e32 v[8:9], 4, v[20:21]
	v_add_co_u32 v22, vcc_lo, v30, v26
	v_add_nc_u32_e32 v20, s10, v20
	s_wait_alu 0xfffd
	v_add_co_ci_u32_e32 v23, vcc_lo, v31, v27, vcc_lo
	s_delay_alu instid0(VALU_DEP_4)
	v_add_co_u32 v26, vcc_lo, v30, v8
	ds_load_b128 v[0:3], v28 offset:1664
	ds_load_b128 v[4:7], v28 offset:1872
	s_wait_alu 0xfffd
	v_add_co_ci_u32_e32 v27, vcc_lo, v31, v9, vcc_lo
	ds_load_b128 v[8:11], v28 offset:2080
	ds_load_b128 v[12:15], v28 offset:2288
	;; [unrolled: 1-line block ×3, first 2 shown]
	v_lshlrev_b64_e32 v[24:25], 4, v[20:21]
	v_add_nc_u32_e32 v20, s10, v20
	s_delay_alu instid0(VALU_DEP_1) | instskip(SKIP_1) | instid1(VALU_DEP_4)
	v_lshlrev_b64_e32 v[28:29], 4, v[20:21]
	v_add_nc_u32_e32 v20, s10, v20
	v_add_co_u32 v24, vcc_lo, v30, v24
	s_wait_alu 0xfffd
	v_add_co_ci_u32_e32 v25, vcc_lo, v31, v25, vcc_lo
	s_delay_alu instid0(VALU_DEP_3) | instskip(SKIP_3) | instid1(VALU_DEP_3)
	v_lshlrev_b64_e32 v[20:21], 4, v[20:21]
	v_add_co_u32 v28, vcc_lo, v30, v28
	s_wait_alu 0xfffd
	v_add_co_ci_u32_e32 v29, vcc_lo, v31, v29, vcc_lo
	v_add_co_u32 v20, vcc_lo, v30, v20
	s_wait_alu 0xfffd
	v_add_co_ci_u32_e32 v21, vcc_lo, v31, v21, vcc_lo
	s_wait_dscnt 0x4
	global_store_b128 v[22:23], v[0:3], off
	s_wait_dscnt 0x3
	global_store_b128 v[26:27], v[4:7], off
	;; [unrolled: 2-line block ×5, first 2 shown]
.LBB0_8:
	s_nop 0
	s_sendmsg sendmsg(MSG_DEALLOC_VGPRS)
	s_endpgm
	.section	.rodata,"a",@progbits
	.p2align	6, 0x0
	.amdhsa_kernel fft_rtc_back_len169_factors_13_13_wgs_156_tpt_13_dp_op_CI_CI_sbrc_z_xy_unaligned
		.amdhsa_group_segment_fixed_size 0
		.amdhsa_private_segment_fixed_size 0
		.amdhsa_kernarg_size 104
		.amdhsa_user_sgpr_count 2
		.amdhsa_user_sgpr_dispatch_ptr 0
		.amdhsa_user_sgpr_queue_ptr 0
		.amdhsa_user_sgpr_kernarg_segment_ptr 1
		.amdhsa_user_sgpr_dispatch_id 0
		.amdhsa_user_sgpr_private_segment_size 0
		.amdhsa_wavefront_size32 1
		.amdhsa_uses_dynamic_stack 0
		.amdhsa_enable_private_segment 0
		.amdhsa_system_sgpr_workgroup_id_x 1
		.amdhsa_system_sgpr_workgroup_id_y 0
		.amdhsa_system_sgpr_workgroup_id_z 0
		.amdhsa_system_sgpr_workgroup_info 0
		.amdhsa_system_vgpr_workitem_id 0
		.amdhsa_next_free_vgpr 240
		.amdhsa_next_free_sgpr 56
		.amdhsa_reserve_vcc 1
		.amdhsa_float_round_mode_32 0
		.amdhsa_float_round_mode_16_64 0
		.amdhsa_float_denorm_mode_32 3
		.amdhsa_float_denorm_mode_16_64 3
		.amdhsa_fp16_overflow 0
		.amdhsa_workgroup_processor_mode 1
		.amdhsa_memory_ordered 1
		.amdhsa_forward_progress 0
		.amdhsa_round_robin_scheduling 0
		.amdhsa_exception_fp_ieee_invalid_op 0
		.amdhsa_exception_fp_denorm_src 0
		.amdhsa_exception_fp_ieee_div_zero 0
		.amdhsa_exception_fp_ieee_overflow 0
		.amdhsa_exception_fp_ieee_underflow 0
		.amdhsa_exception_fp_ieee_inexact 0
		.amdhsa_exception_int_div_zero 0
	.end_amdhsa_kernel
	.text
.Lfunc_end0:
	.size	fft_rtc_back_len169_factors_13_13_wgs_156_tpt_13_dp_op_CI_CI_sbrc_z_xy_unaligned, .Lfunc_end0-fft_rtc_back_len169_factors_13_13_wgs_156_tpt_13_dp_op_CI_CI_sbrc_z_xy_unaligned
                                        ; -- End function
	.section	.AMDGPU.csdata,"",@progbits
; Kernel info:
; codeLenInByte = 10236
; NumSgprs: 58
; NumVgprs: 240
; ScratchSize: 0
; MemoryBound: 0
; FloatMode: 240
; IeeeMode: 1
; LDSByteSize: 0 bytes/workgroup (compile time only)
; SGPRBlocks: 7
; VGPRBlocks: 29
; NumSGPRsForWavesPerEU: 58
; NumVGPRsForWavesPerEU: 240
; Occupancy: 6
; WaveLimiterHint : 1
; COMPUTE_PGM_RSRC2:SCRATCH_EN: 0
; COMPUTE_PGM_RSRC2:USER_SGPR: 2
; COMPUTE_PGM_RSRC2:TRAP_HANDLER: 0
; COMPUTE_PGM_RSRC2:TGID_X_EN: 1
; COMPUTE_PGM_RSRC2:TGID_Y_EN: 0
; COMPUTE_PGM_RSRC2:TGID_Z_EN: 0
; COMPUTE_PGM_RSRC2:TIDIG_COMP_CNT: 0
	.text
	.p2alignl 7, 3214868480
	.fill 96, 4, 3214868480
	.type	__hip_cuid_333b54c507081b54,@object ; @__hip_cuid_333b54c507081b54
	.section	.bss,"aw",@nobits
	.globl	__hip_cuid_333b54c507081b54
__hip_cuid_333b54c507081b54:
	.byte	0                               ; 0x0
	.size	__hip_cuid_333b54c507081b54, 1

	.ident	"AMD clang version 19.0.0git (https://github.com/RadeonOpenCompute/llvm-project roc-6.4.0 25133 c7fe45cf4b819c5991fe208aaa96edf142730f1d)"
	.section	".note.GNU-stack","",@progbits
	.addrsig
	.addrsig_sym __hip_cuid_333b54c507081b54
	.amdgpu_metadata
---
amdhsa.kernels:
  - .args:
      - .actual_access:  read_only
        .address_space:  global
        .offset:         0
        .size:           8
        .value_kind:     global_buffer
      - .offset:         8
        .size:           8
        .value_kind:     by_value
      - .actual_access:  read_only
        .address_space:  global
        .offset:         16
        .size:           8
        .value_kind:     global_buffer
      - .actual_access:  read_only
        .address_space:  global
        .offset:         24
        .size:           8
        .value_kind:     global_buffer
      - .actual_access:  read_only
        .address_space:  global
        .offset:         32
        .size:           8
        .value_kind:     global_buffer
      - .offset:         40
        .size:           8
        .value_kind:     by_value
      - .actual_access:  read_only
        .address_space:  global
        .offset:         48
        .size:           8
        .value_kind:     global_buffer
      - .actual_access:  read_only
        .address_space:  global
        .offset:         56
        .size:           8
        .value_kind:     global_buffer
      - .offset:         64
        .size:           4
        .value_kind:     by_value
      - .actual_access:  read_only
        .address_space:  global
        .offset:         72
        .size:           8
        .value_kind:     global_buffer
      - .actual_access:  read_only
        .address_space:  global
        .offset:         80
        .size:           8
        .value_kind:     global_buffer
      - .actual_access:  read_only
        .address_space:  global
        .offset:         88
        .size:           8
        .value_kind:     global_buffer
      - .actual_access:  write_only
        .address_space:  global
        .offset:         96
        .size:           8
        .value_kind:     global_buffer
    .group_segment_fixed_size: 0
    .kernarg_segment_align: 8
    .kernarg_segment_size: 104
    .language:       OpenCL C
    .language_version:
      - 2
      - 0
    .max_flat_workgroup_size: 156
    .name:           fft_rtc_back_len169_factors_13_13_wgs_156_tpt_13_dp_op_CI_CI_sbrc_z_xy_unaligned
    .private_segment_fixed_size: 0
    .sgpr_count:     58
    .sgpr_spill_count: 0
    .symbol:         fft_rtc_back_len169_factors_13_13_wgs_156_tpt_13_dp_op_CI_CI_sbrc_z_xy_unaligned.kd
    .uniform_work_group_size: 1
    .uses_dynamic_stack: false
    .vgpr_count:     240
    .vgpr_spill_count: 0
    .wavefront_size: 32
    .workgroup_processor_mode: 1
amdhsa.target:   amdgcn-amd-amdhsa--gfx1201
amdhsa.version:
  - 1
  - 2
...

	.end_amdgpu_metadata
